;; amdgpu-corpus repo=ROCm/rocFFT kind=compiled arch=gfx1030 opt=O3
	.text
	.amdgcn_target "amdgcn-amd-amdhsa--gfx1030"
	.amdhsa_code_object_version 6
	.protected	bluestein_single_back_len714_dim1_half_op_CI_CI ; -- Begin function bluestein_single_back_len714_dim1_half_op_CI_CI
	.globl	bluestein_single_back_len714_dim1_half_op_CI_CI
	.p2align	8
	.type	bluestein_single_back_len714_dim1_half_op_CI_CI,@function
bluestein_single_back_len714_dim1_half_op_CI_CI: ; @bluestein_single_back_len714_dim1_half_op_CI_CI
; %bb.0:
	s_load_dwordx4 s[8:11], s[4:5], 0x28
	v_mul_u32_u24_e32 v1, 0x506, v0
	v_mov_b32_e32 v25, 0
	s_mov_b32 s0, exec_lo
	v_lshrrev_b32_e32 v1, 16, v1
	v_add_nc_u32_e32 v24, s6, v1
	s_waitcnt lgkmcnt(0)
	v_cmpx_gt_u64_e64 s[8:9], v[24:25]
	s_cbranch_execz .LBB0_23
; %bb.1:
	s_load_dwordx4 s[0:3], s[4:5], 0x18
	v_mul_lo_u16 v1, v1, 51
	v_sub_nc_u16 v7, v0, v1
	v_and_b32_e32 v53, 0xffff, v7
	v_lshlrev_b32_e32 v43, 2, v53
	s_waitcnt lgkmcnt(0)
	s_load_dwordx4 s[12:15], s[0:1], 0x0
	s_load_dwordx2 s[0:1], s[4:5], 0x0
	s_waitcnt lgkmcnt(0)
	s_clause 0x1
	global_load_dword v55, v43, s[0:1] offset:952
	global_load_dword v54, v43, s[0:1] offset:1904
	v_mad_u64_u32 v[0:1], null, s14, v24, 0
	v_mad_u64_u32 v[2:3], null, s12, v53, 0
	v_add_co_u32 v20, s6, s0, v43
	s_mul_i32 s7, s13, 0xee
	s_mul_hi_u32 s9, s12, 0xee
	v_add_co_ci_u32_e64 v21, null, s1, 0, s6
	v_mad_u64_u32 v[4:5], null, s15, v24, v[1:2]
	s_mul_i32 s6, s12, 0xee
	s_mul_i32 s14, s13, 0xfffffe57
	s_add_i32 s7, s9, s7
	s_mul_i32 s8, s12, 0xfffffe57
	s_clause 0x2
	global_load_dword v56, v43, s[0:1]
	global_load_dword v52, v43, s[0:1] offset:204
	global_load_dword v49, v43, s[0:1] offset:408
	v_mad_u64_u32 v[5:6], null, s13, v53, v[3:4]
	v_mov_b32_e32 v1, v4
	s_mul_hi_u32 s13, s12, 0xfffffe57
	s_sub_i32 s9, s13, s12
	s_lshl_b64 s[12:13], s[6:7], 2
	v_lshlrev_b64 v[0:1], 2, v[0:1]
	v_mov_b32_e32 v3, v5
	s_add_i32 s9, s9, s14
	s_lshl_b64 s[14:15], s[8:9], 2
	v_lshlrev_b64 v[2:3], 2, v[2:3]
	v_add_co_u32 v0, vcc_lo, s10, v0
	v_add_co_ci_u32_e32 v1, vcc_lo, s11, v1, vcc_lo
	v_add_co_u32 v0, vcc_lo, v0, v2
	v_add_co_ci_u32_e32 v1, vcc_lo, v1, v3, vcc_lo
	;; [unrolled: 2-line block ×3, first 2 shown]
	s_clause 0x1
	global_load_dword v6, v[0:1], off
	global_load_dword v8, v[2:3], off
	v_add_co_u32 v0, vcc_lo, v2, s12
	v_add_co_ci_u32_e32 v1, vcc_lo, s13, v3, vcc_lo
	v_add_co_u32 v2, vcc_lo, v0, s14
	v_add_co_ci_u32_e32 v3, vcc_lo, s15, v1, vcc_lo
	global_load_dword v9, v[0:1], off
	v_add_co_u32 v0, vcc_lo, v2, s12
	v_add_co_ci_u32_e32 v1, vcc_lo, s13, v3, vcc_lo
	s_clause 0x2
	global_load_dword v51, v43, s[0:1] offset:1156
	global_load_dword v48, v43, s[0:1] offset:1360
	;; [unrolled: 1-line block ×3, first 2 shown]
	s_clause 0x1
	global_load_dword v10, v[2:3], off
	global_load_dword v11, v[0:1], off
	v_add_co_u32 v0, vcc_lo, v0, s12
	v_add_co_ci_u32_e32 v1, vcc_lo, s13, v1, vcc_lo
	v_add_co_u32 v22, vcc_lo, 0x800, v20
	v_add_co_ci_u32_e32 v23, vcc_lo, 0, v21, vcc_lo
	global_load_dword v12, v[0:1], off
	v_add_co_u32 v0, vcc_lo, v0, s14
	v_add_co_ci_u32_e32 v1, vcc_lo, s15, v1, vcc_lo
	s_clause 0x1
	global_load_dword v50, v[22:23], off offset:60
	global_load_dword v47, v[22:23], off offset:264
	v_add_co_u32 v2, vcc_lo, v0, s12
	v_add_co_ci_u32_e32 v3, vcc_lo, s13, v1, vcc_lo
	global_load_dword v13, v[0:1], off
	v_add_co_u32 v0, vcc_lo, v2, s12
	v_add_co_ci_u32_e32 v1, vcc_lo, s13, v3, vcc_lo
	global_load_dword v14, v[2:3], off
	;; [unrolled: 3-line block ×4, first 2 shown]
	v_add_co_u32 v0, vcc_lo, v4, s12
	v_add_co_ci_u32_e32 v1, vcc_lo, s13, v5, vcc_lo
	global_load_dword v46, v43, s[0:1] offset:612
	global_load_dword v4, v[4:5], off
	global_load_dword v5, v[0:1], off
	global_load_dword v44, v[22:23], off offset:468
	s_load_dwordx2 s[6:7], s[4:5], 0x38
	s_load_dwordx4 s[8:11], s[2:3], 0x0
	v_add_nc_u32_e32 v2, 0x400, v43
	v_cmp_gt_u16_e32 vcc_lo, 34, v7
	s_waitcnt vmcnt(18)
	v_lshrrev_b32_e32 v16, 16, v6
	v_mul_f16_sdwa v17, v56, v6 dst_sel:DWORD dst_unused:UNUSED_PAD src0_sel:WORD_1 src1_sel:DWORD
	s_waitcnt vmcnt(17)
	v_lshrrev_b32_e32 v19, 16, v8
	v_mul_f16_sdwa v25, v55, v8 dst_sel:DWORD dst_unused:UNUSED_PAD src0_sel:WORD_1 src1_sel:DWORD
	v_mul_f16_sdwa v18, v56, v16 dst_sel:DWORD dst_unused:UNUSED_PAD src0_sel:WORD_1 src1_sel:DWORD
	v_fma_f16 v16, v56, v16, -v17
	v_fmac_f16_e32 v18, v56, v6
	v_mul_f16_sdwa v6, v55, v19 dst_sel:DWORD dst_unused:UNUSED_PAD src0_sel:WORD_1 src1_sel:DWORD
	v_fma_f16 v19, v55, v19, -v25
	s_waitcnt vmcnt(16)
	v_lshrrev_b32_e32 v17, 16, v9
	v_mul_f16_sdwa v25, v54, v9 dst_sel:DWORD dst_unused:UNUSED_PAD src0_sel:WORD_1 src1_sel:DWORD
	v_pack_b32_f16 v16, v18, v16
	v_fmac_f16_e32 v6, v55, v8
	s_waitcnt vmcnt(12)
	v_lshrrev_b32_e32 v18, 16, v10
	v_mul_f16_sdwa v8, v54, v17 dst_sel:DWORD dst_unused:UNUSED_PAD src0_sel:WORD_1 src1_sel:DWORD
	v_mul_f16_sdwa v26, v52, v10 dst_sel:DWORD dst_unused:UNUSED_PAD src0_sel:WORD_1 src1_sel:DWORD
	v_fma_f16 v17, v54, v17, -v25
	v_pack_b32_f16 v6, v6, v19
	s_waitcnt vmcnt(11)
	v_lshrrev_b32_e32 v19, 16, v11
	v_fmac_f16_e32 v8, v54, v9
	v_mul_f16_sdwa v9, v52, v18 dst_sel:DWORD dst_unused:UNUSED_PAD src0_sel:WORD_1 src1_sel:DWORD
	v_mul_f16_sdwa v25, v51, v11 dst_sel:DWORD dst_unused:UNUSED_PAD src0_sel:WORD_1 src1_sel:DWORD
	v_fma_f16 v18, v52, v18, -v26
	ds_write_b32 v43, v6 offset:952
	v_pack_b32_f16 v6, v8, v17
	v_fmac_f16_e32 v9, v52, v10
	v_mul_f16_sdwa v8, v51, v19 dst_sel:DWORD dst_unused:UNUSED_PAD src0_sel:WORD_1 src1_sel:DWORD
	v_fma_f16 v10, v51, v19, -v25
	s_waitcnt vmcnt(10)
	v_lshrrev_b32_e32 v17, 16, v12
	s_waitcnt vmcnt(9)
	v_mul_f16_sdwa v19, v50, v12 dst_sel:DWORD dst_unused:UNUSED_PAD src0_sel:WORD_1 src1_sel:DWORD
	ds_write_b32 v43, v6 offset:1904
	v_pack_b32_f16 v6, v9, v18
	v_fmac_f16_e32 v8, v51, v11
	v_mul_f16_sdwa v9, v50, v17 dst_sel:DWORD dst_unused:UNUSED_PAD src0_sel:WORD_1 src1_sel:DWORD
	v_fma_f16 v11, v50, v17, -v19
	s_waitcnt vmcnt(7)
	v_lshrrev_b32_e32 v17, 16, v13
	v_mul_f16_sdwa v18, v49, v13 dst_sel:DWORD dst_unused:UNUSED_PAD src0_sel:WORD_1 src1_sel:DWORD
	ds_write2_b32 v43, v16, v6 offset1:51
	v_pack_b32_f16 v6, v8, v10
	v_fmac_f16_e32 v9, v50, v12
	v_mul_f16_sdwa v8, v49, v17 dst_sel:DWORD dst_unused:UNUSED_PAD src0_sel:WORD_1 src1_sel:DWORD
	s_waitcnt vmcnt(6)
	v_lshrrev_b32_e32 v10, 16, v14
	v_fma_f16 v12, v49, v17, -v18
	v_mul_f16_sdwa v16, v48, v14 dst_sel:DWORD dst_unused:UNUSED_PAD src0_sel:WORD_1 src1_sel:DWORD
	v_pack_b32_f16 v9, v9, v11
	v_fmac_f16_e32 v8, v49, v13
	v_mul_f16_sdwa v11, v48, v10 dst_sel:DWORD dst_unused:UNUSED_PAD src0_sel:WORD_1 src1_sel:DWORD
	s_waitcnt vmcnt(5)
	v_lshrrev_b32_e32 v13, 16, v15
	v_fma_f16 v10, v48, v10, -v16
	v_mul_f16_sdwa v16, v47, v15 dst_sel:DWORD dst_unused:UNUSED_PAD src0_sel:WORD_1 src1_sel:DWORD
	v_pack_b32_f16 v8, v8, v12
	v_fmac_f16_e32 v11, v48, v14
	v_mul_f16_sdwa v12, v47, v13 dst_sel:DWORD dst_unused:UNUSED_PAD src0_sel:WORD_1 src1_sel:DWORD
	s_waitcnt vmcnt(4)
	v_lshrrev_b32_e32 v14, 16, v3
	v_fma_f16 v13, v47, v13, -v16
	s_waitcnt vmcnt(3)
	v_mul_f16_sdwa v16, v46, v3 dst_sel:DWORD dst_unused:UNUSED_PAD src0_sel:WORD_1 src1_sel:DWORD
	v_pack_b32_f16 v10, v11, v10
	v_fmac_f16_e32 v12, v47, v15
	s_waitcnt vmcnt(2)
	v_lshrrev_b32_e32 v15, 16, v4
	s_waitcnt vmcnt(1)
	v_lshrrev_b32_e32 v17, 16, v5
	v_mul_f16_sdwa v11, v46, v14 dst_sel:DWORD dst_unused:UNUSED_PAD src0_sel:WORD_1 src1_sel:DWORD
	v_fma_f16 v14, v46, v14, -v16
	v_mul_f16_sdwa v16, v45, v4 dst_sel:DWORD dst_unused:UNUSED_PAD src0_sel:WORD_1 src1_sel:DWORD
	ds_write2_b32 v2, v6, v10 offset0:33 offset1:84
	v_mul_f16_sdwa v6, v45, v15 dst_sel:DWORD dst_unused:UNUSED_PAD src0_sel:WORD_1 src1_sel:DWORD
	s_waitcnt vmcnt(0)
	v_mul_f16_sdwa v10, v44, v17 dst_sel:DWORD dst_unused:UNUSED_PAD src0_sel:WORD_1 src1_sel:DWORD
	v_mul_f16_sdwa v18, v44, v5 dst_sel:DWORD dst_unused:UNUSED_PAD src0_sel:WORD_1 src1_sel:DWORD
	v_fmac_f16_e32 v11, v46, v3
	v_fma_f16 v15, v45, v15, -v16
	v_fmac_f16_e32 v6, v45, v4
	v_fmac_f16_e32 v10, v44, v5
	v_fma_f16 v4, v44, v17, -v18
	v_pack_b32_f16 v5, v12, v13
	v_add_nc_u32_e32 v3, 0x800, v43
	v_pack_b32_f16 v11, v11, v14
	v_pack_b32_f16 v6, v6, v15
	;; [unrolled: 1-line block ×3, first 2 shown]
	ds_write2_b32 v3, v9, v5 offset0:15 offset1:66
	ds_write2_b32 v43, v8, v11 offset0:102 offset1:153
	ds_write_b32 v43, v6 offset:1564
	ds_write_b32 v43, v4 offset:2516
	s_and_saveexec_b32 s1, vcc_lo
	s_cbranch_execz .LBB0_3
; %bb.2:
	v_add_co_u32 v0, s0, v0, s14
	v_add_co_ci_u32_e64 v1, s0, s15, v1, s0
	v_add_co_u32 v4, s0, v0, s12
	v_add_co_ci_u32_e64 v5, s0, s13, v1, s0
	;; [unrolled: 2-line block ×3, first 2 shown]
	global_load_dword v0, v[0:1], off
	global_load_dword v1, v[20:21], off offset:816
	global_load_dword v4, v[4:5], off
	global_load_dword v5, v[6:7], off
	s_clause 0x1
	global_load_dword v6, v[20:21], off offset:1768
	global_load_dword v7, v[22:23], off offset:672
	s_waitcnt vmcnt(5)
	v_lshrrev_b32_e32 v8, 16, v0
	s_waitcnt vmcnt(4)
	v_mul_f16_sdwa v9, v1, v0 dst_sel:DWORD dst_unused:UNUSED_PAD src0_sel:WORD_1 src1_sel:DWORD
	s_waitcnt vmcnt(3)
	v_lshrrev_b32_e32 v10, 16, v4
	s_waitcnt vmcnt(2)
	v_lshrrev_b32_e32 v11, 16, v5
	v_mul_f16_sdwa v12, v1, v8 dst_sel:DWORD dst_unused:UNUSED_PAD src0_sel:WORD_1 src1_sel:DWORD
	v_fma_f16 v8, v1, v8, -v9
	s_waitcnt vmcnt(1)
	v_mul_f16_sdwa v9, v6, v4 dst_sel:DWORD dst_unused:UNUSED_PAD src0_sel:WORD_1 src1_sel:DWORD
	v_mul_f16_sdwa v13, v6, v10 dst_sel:DWORD dst_unused:UNUSED_PAD src0_sel:WORD_1 src1_sel:DWORD
	s_waitcnt vmcnt(0)
	v_mul_f16_sdwa v14, v7, v11 dst_sel:DWORD dst_unused:UNUSED_PAD src0_sel:WORD_1 src1_sel:DWORD
	v_mul_f16_sdwa v15, v7, v5 dst_sel:DWORD dst_unused:UNUSED_PAD src0_sel:WORD_1 src1_sel:DWORD
	v_fmac_f16_e32 v12, v1, v0
	v_fma_f16 v0, v6, v10, -v9
	v_fmac_f16_e32 v13, v6, v4
	v_fmac_f16_e32 v14, v7, v5
	v_fma_f16 v1, v7, v11, -v15
	v_pack_b32_f16 v4, v12, v8
	v_add_nc_u32_e32 v5, 0x300, v43
	v_pack_b32_f16 v0, v13, v0
	v_pack_b32_f16 v1, v14, v1
	ds_write2_b32 v5, v4, v0 offset0:12 offset1:250
	ds_write_b32 v43, v1 offset:2720
.LBB0_3:
	s_or_b32 exec_lo, exec_lo, s1
	v_add_nc_u32_e32 v0, 0x200, v43
	v_add_nc_u32_e32 v1, 0x600, v43
	s_waitcnt lgkmcnt(0)
	s_barrier
	buffer_gl0_inv
	ds_read2_b32 v[10:11], v43 offset1:51
	ds_read2_b32 v[12:13], v0 offset0:110 offset1:161
	ds_read2_b32 v[8:9], v1 offset0:92 offset1:143
	;; [unrolled: 1-line block ×5, first 2 shown]
                                        ; implicit-def: $vgpr14
                                        ; implicit-def: $vgpr3
	s_and_saveexec_b32 s0, vcc_lo
	s_cbranch_execz .LBB0_5
; %bb.4:
	v_add_nc_u32_e32 v2, 0x300, v43
	ds_read2_b32 v[2:3], v2 offset0:12 offset1:250
	ds_read_b32 v14, v43 offset:2720
.LBB0_5:
	s_or_b32 exec_lo, exec_lo, s0
	s_waitcnt lgkmcnt(3)
	v_pk_add_f16 v15, v12, v8
	v_pk_add_f16 v16, v12, v8 neg_lo:[0,1] neg_hi:[0,1]
	v_pk_add_f16 v12, v10, v12
	v_add_nc_u32_e32 v18, 51, v53
	s_load_dwordx2 s[2:3], s[4:5], 0x8
	v_pk_fma_f16 v10, v15, 0.5, v10 op_sel_hi:[1,0,1] neg_lo:[1,0,0] neg_hi:[1,0,0]
	v_pk_mul_f16 v15, 0x3aee, v16 op_sel_hi:[0,1]
	v_pk_add_f16 v16, v12, v8
	v_pk_add_f16 v8, v13, v9
	;; [unrolled: 1-line block ×3, first 2 shown]
	v_add_nc_u32_e32 v26, 0x66, v53
	v_pk_add_f16 v17, v10, v15 op_sel:[0,1] op_sel_hi:[1,0]
	v_pk_add_f16 v69, v10, v15 op_sel:[0,1] op_sel_hi:[1,0] neg_lo:[0,1] neg_hi:[0,1]
	v_pk_add_f16 v10, v13, v9 neg_lo:[0,1] neg_hi:[0,1]
	s_waitcnt lgkmcnt(0)
	v_pk_add_f16 v13, v6, v0
	v_pk_add_f16 v15, v6, v0 neg_lo:[0,1] neg_hi:[0,1]
	v_pk_add_f16 v6, v4, v6
	v_pk_fma_f16 v8, v8, 0.5, v11 op_sel_hi:[1,0,1] neg_lo:[1,0,0] neg_hi:[1,0,0]
	v_pk_mul_f16 v10, 0x3aee, v10 op_sel_hi:[0,1]
	v_pk_add_f16 v19, v12, v9
	v_pk_add_f16 v9, v3, v14 neg_lo:[0,1] neg_hi:[0,1]
	v_pk_add_f16 v27, v6, v0
	v_pk_add_f16 v0, v7, v1
	v_pk_add_f16 v6, v7, v1 neg_lo:[0,1] neg_hi:[0,1]
	v_pk_add_f16 v25, v8, v10 op_sel:[0,1] op_sel_hi:[1,0]
	v_pk_add_f16 v72, v8, v10 op_sel:[0,1] op_sel_hi:[1,0] neg_lo:[0,1] neg_hi:[0,1]
	v_pk_add_f16 v8, v14, v3
	v_pk_add_f16 v7, v5, v7
	v_pk_fma_f16 v0, v0, 0.5, v5 op_sel_hi:[1,0,1] neg_lo:[1,0,0] neg_hi:[1,0,0]
	v_pk_mul_f16 v5, 0x3aee, v6 op_sel_hi:[0,1]
	v_add_nc_u32_e32 v29, 0x99, v53
	v_pk_fma_f16 v6, v8, 0.5, v2 op_sel_hi:[1,0,1] neg_lo:[1,0,0] neg_hi:[1,0,0]
	v_pk_add_f16 v30, v7, v1
	v_pk_add_f16 v1, v3, v2
	v_mul_lo_u16 v2, v53, 3
	v_mov_b32_e32 v3, 2
	v_pk_add_f16 v31, v0, v5 op_sel:[0,1] op_sel_hi:[1,0]
	v_pk_add_f16 v74, v0, v5 op_sel:[0,1] op_sel_hi:[1,0] neg_lo:[0,1] neg_hi:[0,1]
	v_mul_u32_u24_e32 v0, 3, v18
	v_pk_fma_f16 v4, v13, 0.5, v4 op_sel_hi:[1,0,1] neg_lo:[1,0,0] neg_hi:[1,0,0]
	v_pk_mul_f16 v11, 0x3aee, v15 op_sel_hi:[0,1]
	v_pk_mul_f16 v8, 0x3aee, v9 op_sel_hi:[0,1]
	v_pk_add_f16 v33, v14, v1
	v_lshlrev_b32_sdwa v42, v3, v2 dst_sel:DWORD dst_unused:UNUSED_PAD src0_sel:DWORD src1_sel:WORD_0
	v_bfi_b32 v1, 0xffff, v69, v17
	v_bfi_b32 v2, 0xffff, v17, v69
	v_lshlrev_b32_e32 v41, 2, v0
	v_add_co_u32 v32, null, 0xcc, v53
	v_pk_add_f16 v28, v4, v11 op_sel:[0,1] op_sel_hi:[1,0]
	v_pk_add_f16 v73, v4, v11 op_sel:[0,1] op_sel_hi:[1,0] neg_lo:[0,1] neg_hi:[0,1]
	v_pk_add_f16 v34, v6, v8 op_sel:[0,1] op_sel_hi:[1,0]
	s_barrier
	buffer_gl0_inv
	ds_write_b32 v42, v16
	v_mul_u32_u24_e32 v4, 3, v26
	ds_write2_b32 v42, v2, v1 offset0:1 offset1:2
	ds_write_b32 v41, v19
	v_mul_u32_u24_e32 v1, 3, v29
	v_bfi_b32 v0, 0xffff, v72, v25
	v_bfi_b32 v3, 0xffff, v25, v72
	v_pk_add_f16 v71, v6, v8 op_sel:[0,1] op_sel_hi:[1,0] neg_lo:[0,1] neg_hi:[0,1]
	v_lshrrev_b32_e32 v70, 16, v34
	v_lshlrev_b32_e32 v60, 2, v4
	v_lshlrev_b32_e32 v61, 2, v1
	v_mul_u32_u24_e32 v59, 3, v32
	ds_write2_b32 v41, v3, v0 offset0:1 offset1:2
	v_bfi_b32 v0, 0xffff, v73, v28
	v_bfi_b32 v2, 0xffff, v28, v73
	;; [unrolled: 1-line block ×4, first 2 shown]
	ds_write_b32 v60, v27
	ds_write2_b32 v60, v2, v0 offset0:1 offset1:2
	ds_write_b32 v61, v30
	ds_write2_b32 v61, v3, v1 offset0:1 offset1:2
	s_and_saveexec_b32 s0, vcc_lo
	s_cbranch_execz .LBB0_7
; %bb.6:
	v_lshlrev_b32_e32 v0, 2, v59
	v_bfi_b32 v1, 0xffff, v34, v71
	v_perm_b32 v2, v70, v71, 0x5040100
	ds_write_b32 v0, v33
	ds_write2_b32 v0, v1, v2 offset0:1 offset1:2
.LBB0_7:
	s_or_b32 exec_lo, exec_lo, s0
	v_lshrrev_b32_e32 v79, 16, v17
	v_lshrrev_b32_e32 v80, 16, v25
	v_lshrrev_b32_e32 v83, 16, v28
	v_lshrrev_b32_e32 v82, 16, v31
	v_cmp_gt_u16_e64 s0, 42, v53
	s_waitcnt lgkmcnt(0)
	s_barrier
	buffer_gl0_inv
                                        ; implicit-def: $vgpr36
                                        ; implicit-def: $vgpr84
                                        ; implicit-def: $vgpr81
                                        ; implicit-def: $vgpr85
	s_and_saveexec_b32 s1, s0
	s_cbranch_execz .LBB0_9
; %bb.8:
	v_add_nc_u32_e32 v0, 0x400, v43
	v_add_nc_u32_e32 v2, 0x800, v43
	;; [unrolled: 1-line block ×4, first 2 shown]
	ds_read2_b32 v[18:19], v43 offset0:84 offset1:126
	ds_read2_b32 v[25:26], v43 offset0:168 offset1:210
	ds_read_b32 v81, v43 offset:2688
	ds_read2_b32 v[29:30], v0 offset0:80 offset1:122
	ds_read2_b32 v[31:32], v0 offset0:164 offset1:206
	;; [unrolled: 1-line block ×5, first 2 shown]
	ds_read2_b32 v[16:17], v43 offset1:42
	s_waitcnt lgkmcnt(5)
	v_lshrrev_b32_e32 v83, 16, v29
	s_waitcnt lgkmcnt(4)
	v_lshrrev_b32_e32 v82, 16, v32
	v_lshrrev_b32_e32 v79, 16, v18
	;; [unrolled: 1-line block ×4, first 2 shown]
	v_bfi_b32 v72, 0xffff, v26, v25
	s_waitcnt lgkmcnt(3)
	v_lshrrev_b32_e32 v70, 16, v35
	v_lshrrev_b32_e32 v84, 16, v36
	s_waitcnt lgkmcnt(2)
	v_bfi_b32 v71, 0xffff, v35, v34
	v_bfi_b32 v74, 0xffff, v32, v31
	s_waitcnt lgkmcnt(1)
	v_bfi_b32 v73, 0xffff, v29, v28
	s_waitcnt lgkmcnt(0)
	v_bfi_b32 v69, 0xffff, v18, v17
.LBB0_9:
	s_or_b32 exec_lo, exec_lo, s1
	v_and_b32_e32 v0, 0xff, v53
	v_lshrrev_b32_e32 v94, 16, v69
	v_lshrrev_b32_e32 v86, 16, v19
	;; [unrolled: 1-line block ×4, first 2 shown]
	v_mul_lo_u16 v0, 0xab, v0
	v_lshrrev_b32_e32 v88, 16, v27
	v_lshrrev_b32_e32 v91, 16, v74
	v_lshrrev_b32_e32 v90, 16, v30
	v_lshrrev_b32_e32 v92, 16, v33
	v_lshrrev_b16 v58, 9, v0
	v_lshrrev_b32_e32 v93, 16, v71
	v_mul_lo_u16 v0, v58, 3
	v_sub_nc_u16 v0, v53, v0
	v_and_b32_e32 v57, 0xff, v0
	v_lshlrev_b32_e32 v12, 6, v57
	s_clause 0x3
	global_load_dwordx4 v[8:11], v12, s[2:3]
	global_load_dwordx4 v[0:3], v12, s[2:3] offset:16
	global_load_dwordx4 v[4:7], v12, s[2:3] offset:32
	;; [unrolled: 1-line block ×3, first 2 shown]
	s_waitcnt vmcnt(0)
	s_barrier
	buffer_gl0_inv
	v_mul_f16_sdwa v68, v17, v8 dst_sel:DWORD dst_unused:UNUSED_PAD src0_sel:DWORD src1_sel:WORD_1
	v_mul_f16_sdwa v66, v72, v0 dst_sel:DWORD dst_unused:UNUSED_PAD src0_sel:DWORD src1_sel:WORD_1
	;; [unrolled: 1-line block ×12, first 2 shown]
	v_fmac_f16_e32 v66, v80, v0
	v_fmac_f16_e32 v68, v94, v8
	v_fmac_f16_e32 v35, v85, v15
	v_fma_f16 v80, v17, v8, -v104
	v_fma_f16 v17, v81, v15, -v107
	v_mul_f16_sdwa v65, v19, v10 dst_sel:DWORD dst_unused:UNUSED_PAD src0_sel:DWORD src1_sel:WORD_1
	v_mul_f16_sdwa v76, v87, v11 dst_sel:DWORD dst_unused:UNUSED_PAD src0_sel:DWORD src1_sel:WORD_1
	;; [unrolled: 1-line block ×8, first 2 shown]
	v_fma_f16 v78, v19, v10, -v75
	v_fma_f16 v75, v28, v2, -v96
	v_fmac_f16_e32 v67, v79, v9
	v_fma_f16 v79, v69, v9, -v102
	v_fmac_f16_e32 v40, v84, v14
	v_fma_f16 v28, v36, v14, -v108
	v_sub_f16_e32 v169, v68, v35
	v_sub_f16_e32 v109, v80, v17
	v_mul_f16_sdwa v63, v25, v11 dst_sel:DWORD dst_unused:UNUSED_PAD src0_sel:DWORD src1_sel:WORD_1
	v_mul_f16_sdwa v38, v27, v1 dst_sel:DWORD dst_unused:UNUSED_PAD src0_sel:DWORD src1_sel:WORD_1
	;; [unrolled: 1-line block ×8, first 2 shown]
	v_fma_f16 v77, v25, v11, -v76
	v_fma_f16 v76, v27, v1, -v95
	;; [unrolled: 1-line block ×3, first 2 shown]
	v_fmac_f16_e32 v65, v86, v10
	v_fmac_f16_e32 v32, v90, v4
	v_fma_f16 v36, v71, v13, -v106
	v_fmac_f16_e32 v62, v70, v13
	v_add_f16_e32 v98, v80, v17
	v_sub_f16_e32 v166, v67, v40
	v_add_f16_e32 v152, v68, v35
	v_sub_f16_e32 v108, v79, v28
	v_mul_f16_e32 v90, 0xb5c8, v169
	v_mul_f16_e32 v96, 0xb5c8, v109
	;; [unrolled: 1-line block ×6, first 2 shown]
	v_mul_f16_sdwa v26, v33, v7 dst_sel:DWORD dst_unused:UNUSED_PAD src0_sel:DWORD src1_sel:WORD_1
	v_mul_f16_sdwa v64, v73, v3 dst_sel:DWORD dst_unused:UNUSED_PAD src0_sel:DWORD src1_sel:WORD_1
	;; [unrolled: 1-line block ×3, first 2 shown]
	v_fma_f16 v30, v30, v4, -v97
	v_fma_f16 v25, v33, v7, -v99
	;; [unrolled: 1-line block ×3, first 2 shown]
	v_fmac_f16_e32 v63, v87, v11
	v_fmac_f16_e32 v38, v88, v1
	v_fma_f16 v33, v73, v3, -v103
	v_fmac_f16_e32 v39, v82, v6
	v_fmac_f16_e32 v18, v93, v12
	v_add_f16_e32 v97, v79, v28
	v_add_f16_e32 v151, v67, v40
	v_sub_f16_e32 v177, v65, v62
	v_sub_f16_e32 v113, v78, v36
	v_mul_f16_e32 v82, 0xb964, v166
	v_mul_f16_e32 v88, 0xb964, v108
	;; [unrolled: 1-line block ×6, first 2 shown]
	v_fmamk_f16 v69, v98, 0x3b76, v90
	v_fma_f16 v71, v152, 0x3b76, -v96
	v_fmamk_f16 v73, v98, 0x39e9, v118
	v_fma_f16 v153, v152, 0x39e9, -v129
	;; [unrolled: 2-line block ×3, first 2 shown]
	v_mul_f16_sdwa v29, v31, v5 dst_sel:DWORD dst_unused:UNUSED_PAD src0_sel:DWORD src1_sel:WORD_1
	v_fma_f16 v34, v72, v0, -v101
	v_fma_f16 v31, v74, v6, -v105
	v_fmac_f16_e32 v26, v92, v7
	v_add_f16_e32 v99, v78, v36
	v_add_f16_e32 v150, v65, v62
	v_sub_f16_e32 v179, v63, v18
	v_sub_f16_e32 v111, v77, v19
	v_mul_f16_e32 v86, 0xbb29, v177
	v_mul_f16_e32 v95, 0xbb29, v113
	;; [unrolled: 1-line block ×6, first 2 shown]
	v_fmamk_f16 v70, v97, 0x39e9, v82
	v_fma_f16 v72, v151, 0x39e9, -v88
	v_fmamk_f16 v74, v97, 0x2de8, v115
	v_fma_f16 v154, v151, 0x2de8, -v125
	;; [unrolled: 2-line block ×3, first 2 shown]
	v_add_f16_e32 v69, v16, v69
	v_add_f16_sdwa v71, v16, v71 dst_sel:DWORD dst_unused:UNUSED_PAD src0_sel:WORD_1 src1_sel:DWORD
	v_add_f16_e32 v73, v16, v73
	v_add_f16_sdwa v153, v16, v153 dst_sel:DWORD dst_unused:UNUSED_PAD src0_sel:WORD_1 src1_sel:DWORD
	;; [unrolled: 2-line block ×3, first 2 shown]
	v_add_f16_e32 v103, v77, v19
	v_add_f16_e32 v144, v63, v18
	v_sub_f16_e32 v180, v66, v26
	v_sub_f16_e32 v112, v34, v25
	v_mul_f16_e32 v87, 0xbbf7, v179
	v_mul_f16_e32 v94, 0xbbf7, v111
	v_mul_f16_e32 v117, 0xb1e1, v179
	v_mul_f16_e32 v121, 0xb1e1, v111
	v_mul_f16_e32 v132, 0x3bb2, v179
	v_mul_f16_e32 v145, 0x3bb2, v111
	v_fmamk_f16 v159, v99, 0x3722, v86
	v_fma_f16 v160, v150, 0x3722, -v95
	v_fmamk_f16 v161, v99, 0xb8d2, v116
	v_fma_f16 v162, v150, 0xb8d2, -v120
	;; [unrolled: 2-line block ×3, first 2 shown]
	v_add_f16_e32 v69, v70, v69
	v_add_f16_e32 v70, v72, v71
	;; [unrolled: 1-line block ×6, first 2 shown]
	v_fmac_f16_e32 v37, v89, v2
	v_fmac_f16_e32 v29, v91, v5
	v_add_f16_e32 v110, v34, v25
	v_add_f16_e32 v148, v66, v26
	v_sub_f16_e32 v181, v38, v39
	v_sub_f16_e32 v124, v76, v31
	v_mul_f16_e32 v85, 0xbbb2, v180
	v_mul_f16_e32 v92, 0xbbb2, v112
	;; [unrolled: 1-line block ×6, first 2 shown]
	v_fmamk_f16 v165, v103, 0x2de8, v87
	v_fma_f16 v167, v144, 0x2de8, -v94
	v_fmamk_f16 v168, v103, 0xbbdd, v117
	v_fma_f16 v170, v144, 0xbbdd, -v121
	;; [unrolled: 2-line block ×3, first 2 shown]
	v_add_f16_e32 v69, v159, v69
	v_add_f16_e32 v70, v160, v70
	;; [unrolled: 1-line block ×6, first 2 shown]
	v_fmac_f16_e32 v64, v83, v3
	v_add_f16_e32 v114, v76, v31
	v_add_f16_e32 v147, v38, v39
	v_sub_f16_e32 v183, v37, v29
	v_sub_f16_e32 v131, v75, v27
	v_mul_f16_e32 v83, 0xba62, v181
	v_mul_f16_e32 v93, 0xba62, v124
	v_mul_f16_e32 v101, 0x3bb2, v181
	v_mul_f16_e32 v123, 0x3bb2, v124
	v_mul_f16_e32 v127, 0xb5c8, v181
	v_mul_f16_e32 v138, 0xb5c8, v124
	v_fmamk_f16 v173, v110, 0xb461, v85
	v_fma_f16 v174, v148, 0xb461, -v92
	v_fmamk_f16 v175, v110, 0xbacd, v107
	v_fma_f16 v176, v148, 0xbacd, -v122
	;; [unrolled: 2-line block ×3, first 2 shown]
	v_add_f16_e32 v69, v165, v69
	v_add_f16_e32 v70, v167, v70
	;; [unrolled: 1-line block ×8, first 2 shown]
	v_sub_f16_e32 v186, v64, v32
	v_sub_f16_e32 v135, v33, v30
	v_mul_f16_e32 v84, 0xb836, v183
	v_mul_f16_e32 v91, 0xb836, v131
	;; [unrolled: 1-line block ×6, first 2 shown]
	v_fmamk_f16 v184, v114, 0xb8d2, v83
	v_fma_f16 v185, v147, 0xb8d2, -v93
	v_fmamk_f16 v187, v114, 0xb461, v101
	v_fma_f16 v188, v147, 0xb461, -v123
	;; [unrolled: 2-line block ×3, first 2 shown]
	v_add_f16_e32 v69, v173, v69
	v_add_f16_e32 v70, v174, v70
	;; [unrolled: 1-line block ×8, first 2 shown]
	v_mul_f16_e32 v81, 0xb1e1, v186
	v_mul_f16_e32 v89, 0xb1e1, v135
	;; [unrolled: 1-line block ×6, first 2 shown]
	v_fmamk_f16 v191, v119, 0xbacd, v84
	v_fma_f16 v192, v140, 0xbacd, -v91
	v_fmamk_f16 v193, v119, 0x3722, v102
	v_fma_f16 v194, v140, 0x3722, -v104
	;; [unrolled: 2-line block ×3, first 2 shown]
	v_add_f16_e32 v69, v184, v69
	v_add_f16_e32 v70, v185, v70
	;; [unrolled: 1-line block ×6, first 2 shown]
	v_fmamk_f16 v197, v130, 0xbbdd, v81
	v_fma_f16 v198, v141, 0xbbdd, -v89
	v_fmamk_f16 v199, v130, 0x3b76, v100
	v_fma_f16 v200, v141, 0x3b76, -v106
	;; [unrolled: 2-line block ×3, first 2 shown]
	v_add_f16_e32 v69, v191, v69
	v_add_f16_e32 v70, v192, v70
	;; [unrolled: 1-line block ×12, first 2 shown]
	s_and_saveexec_b32 s1, s0
	s_cbranch_execz .LBB0_11
; %bb.10:
	v_mul_f16_e32 v175, 0x2de8, v152
	v_mul_f16_e32 v173, 0xbbdd, v151
	;; [unrolled: 1-line block ×5, first 2 shown]
	v_fmamk_f16 v153, v109, 0x3bf7, v175
	v_fmamk_f16 v154, v108, 0x31e1, v173
	;; [unrolled: 1-line block ×3, first 2 shown]
	v_mul_f16_e32 v172, 0xbbf7, v169
	v_mul_f16_e32 v159, 0xbacd, v147
	v_add_f16_sdwa v153, v16, v153 dst_sel:DWORD dst_unused:UNUSED_PAD src0_sel:WORD_1 src1_sel:DWORD
	v_mul_f16_e32 v168, 0xb1e1, v166
	v_mul_f16_e32 v193, 0xb461, v152
	v_fmamk_f16 v156, v98, 0x2de8, v172
	v_mul_f16_e32 v158, 0xb8d2, v140
	v_add_f16_e32 v153, v154, v153
	v_fmamk_f16 v154, v111, 0xb5c8, v161
	v_mul_f16_e32 v164, 0x3bb2, v177
	v_mul_f16_e32 v191, 0xbacd, v151
	v_fmamk_f16 v170, v97, 0xbbdd, v168
	v_add_f16_e32 v153, v155, v153
	v_fmamk_f16 v155, v112, 0x3b29, v160
	v_add_f16_e32 v156, v16, v156
	v_mul_f16_e32 v163, 0x35c8, v179
	v_mul_f16_e32 v188, 0x39e9, v150
	v_add_f16_e32 v153, v154, v153
	v_fmamk_f16 v154, v124, 0x3836, v159
	v_fmamk_f16 v167, v131, 0xba62, v158
	;; [unrolled: 1-line block ×4, first 2 shown]
	v_add_f16_e32 v153, v155, v153
	v_fmamk_f16 v155, v109, 0x3bb2, v193
	v_add_f16_e32 v156, v170, v156
	v_mul_f16_e32 v162, 0xbb29, v180
	v_fmamk_f16 v170, v103, 0x3b76, v163
	v_add_f16_e32 v153, v154, v153
	v_add_f16_sdwa v154, v16, v155 dst_sel:DWORD dst_unused:UNUSED_PAD src0_sel:WORD_1 src1_sel:DWORD
	v_add_f16_e32 v156, v171, v156
	v_mul_f16_e32 v190, 0x3722, v144
	v_mul_f16_e32 v189, 0xbbdd, v148
	v_add_f16_e32 v153, v167, v153
	v_add_f16_e32 v154, v174, v154
	v_fmamk_f16 v167, v113, 0xb964, v188
	v_add_f16_e32 v156, v170, v156
	v_fmamk_f16 v170, v110, 0x3722, v162
	v_mul_f16_e32 v174, 0xb836, v181
	v_mul_f16_e32 v157, 0x39e9, v141
	v_add_f16_e32 v154, v167, v154
	v_fmamk_f16 v167, v111, 0x3b29, v190
	v_add_f16_e32 v156, v170, v156
	v_fmamk_f16 v171, v114, 0xbacd, v174
	v_mul_f16_e32 v170, 0x3a62, v183
	v_mul_f16_e32 v187, 0x2de8, v147
	v_add_f16_e32 v154, v167, v154
	v_fmamk_f16 v167, v112, 0x31e1, v189
	v_fmamk_f16 v155, v135, 0xb964, v157
	v_add_f16_e32 v156, v171, v156
	v_fmamk_f16 v176, v119, 0xb8d2, v170
	v_mul_f16_e32 v171, 0x3964, v186
	v_add_f16_e32 v154, v167, v154
	v_fmamk_f16 v167, v124, 0xbbf7, v187
	v_mul_f16_e32 v184, 0x3b76, v140
	v_mul_f16_e32 v196, 0xbbb2, v169
	v_add_f16_e32 v156, v176, v156
	v_fmamk_f16 v176, v130, 0x39e9, v171
	v_add_f16_e32 v167, v167, v154
	v_fmamk_f16 v178, v131, 0x35c8, v184
	;; [unrolled: 2-line block ×3, first 2 shown]
	v_mul_f16_e32 v195, 0x3836, v166
	v_mul_f16_e32 v200, 0xb8d2, v152
	v_add_f16_e32 v154, v176, v156
	v_add_f16_e32 v156, v178, v167
	v_add_f16_e32 v155, v16, v155
	v_fmamk_f16 v167, v97, 0xbacd, v195
	v_mul_f16_e32 v199, 0x3964, v177
	v_fmamk_f16 v178, v109, 0x3a62, v200
	v_mul_f16_e32 v201, 0xb461, v151
	v_mul_f16_e32 v198, 0xbb29, v179
	v_add_f16_e32 v155, v167, v155
	v_fmamk_f16 v167, v99, 0x39e9, v199
	v_add_f16_sdwa v178, v16, v178 dst_sel:DWORD dst_unused:UNUSED_PAD src0_sel:WORD_1 src1_sel:DWORD
	v_fmamk_f16 v185, v108, 0xbbb2, v201
	v_mul_f16_e32 v202, 0x3b76, v150
	v_mul_f16_e32 v197, 0xb1e1, v180
	v_add_f16_e32 v155, v167, v155
	v_fmamk_f16 v167, v103, 0x3722, v198
	v_add_f16_e32 v178, v185, v178
	v_fmamk_f16 v185, v113, 0x35c8, v202
	v_mul_f16_e32 v203, 0xbacd, v144
	v_mul_f16_e32 v194, 0x3bf7, v181
	v_add_f16_e32 v155, v167, v155
	v_fmamk_f16 v167, v110, 0xbbdd, v197
	v_add_f16_e32 v178, v185, v178
	v_fmamk_f16 v185, v111, 0x3836, v203
	v_mul_f16_e32 v204, 0x2de8, v148
	v_mul_f16_e32 v182, 0xb8d2, v141
	v_add_f16_e32 v155, v167, v155
	v_fmamk_f16 v167, v114, 0x2de8, v194
	v_mul_f16_e32 v192, 0xb5c8, v183
	v_add_f16_e32 v178, v185, v178
	v_fmamk_f16 v205, v112, 0xbbf7, v204
	v_mul_f16_e32 v206, 0x39e9, v147
	v_fmamk_f16 v176, v135, 0x3a62, v182
	v_add_f16_e32 v155, v167, v155
	v_fmamk_f16 v167, v119, 0x3b76, v192
	v_mul_f16_e32 v185, 0xba62, v186
	v_add_f16_e32 v178, v205, v178
	v_fmamk_f16 v205, v124, 0x3964, v206
	v_mul_f16_e32 v209, 0xba62, v169
	v_add_f16_e32 v167, v167, v155
	v_fmamk_f16 v208, v130, 0xb8d2, v185
	v_add_f16_e32 v155, v176, v156
	v_add_f16_e32 v176, v205, v178
	v_mul_f16_e32 v205, 0xbacd, v152
	v_fmamk_f16 v210, v98, 0xb8d2, v209
	v_mul_f16_e32 v211, 0x3bb2, v166
	v_add_f16_e32 v156, v208, v167
	v_mul_f16_e32 v208, 0x3722, v151
	v_fmamk_f16 v167, v109, 0x3836, v205
	v_add_f16_e32 v210, v16, v210
	v_fmamk_f16 v212, v97, 0xb461, v211
	v_mul_f16_e32 v213, 0xb5c8, v177
	v_fmamk_f16 v214, v108, 0xbb29, v208
	v_add_f16_sdwa v167, v16, v167 dst_sel:DWORD dst_unused:UNUSED_PAD src0_sel:WORD_1 src1_sel:DWORD
	v_mul_f16_e32 v215, 0x2de8, v150
	v_add_f16_e32 v210, v212, v210
	v_fmamk_f16 v212, v99, 0x3b76, v213
	v_mul_f16_e32 v216, 0xb836, v179
	v_add_f16_e32 v167, v214, v167
	v_fmamk_f16 v214, v113, 0x3bf7, v215
	v_mul_f16_e32 v217, 0xb8d2, v144
	v_add_f16_e32 v210, v212, v210
	v_fmamk_f16 v212, v103, 0xbacd, v216
	v_mul_f16_e32 v218, 0x3bf7, v180
	v_add_f16_e32 v167, v214, v167
	v_fmamk_f16 v214, v111, 0xba62, v217
	v_mul_f16_e32 v219, 0x3b76, v148
	v_mul_f16_e32 v207, 0xbbdd, v140
	v_add_f16_e32 v210, v212, v210
	v_fmamk_f16 v212, v110, 0x2de8, v218
	v_mul_f16_e32 v220, 0xb964, v181
	v_add_f16_e32 v167, v214, v167
	v_fmamk_f16 v214, v112, 0x35c8, v219
	v_mul_f16_e32 v221, 0xbbdd, v147
	v_fmamk_f16 v178, v131, 0x31e1, v207
	v_add_f16_e32 v210, v212, v210
	v_fmamk_f16 v212, v114, 0x39e9, v220
	v_mul_f16_e32 v222, 0x3722, v141
	v_add_f16_e32 v167, v214, v167
	v_fmamk_f16 v214, v124, 0x31e1, v221
	v_mul_f16_e32 v223, 0xb836, v169
	v_add_f16_e32 v176, v178, v176
	v_fmamk_f16 v178, v135, 0xbb29, v222
	v_add_f16_e32 v210, v212, v210
	v_add_f16_e32 v212, v214, v167
	v_fmamk_f16 v214, v98, 0xbacd, v223
	v_mul_f16_e32 v224, 0x3b29, v166
	v_add_f16_e32 v167, v178, v176
	v_mul_f16_e32 v225, 0xb1e1, v183
	v_mul_f16_e32 v226, 0x39e9, v140
	v_add_f16_e32 v176, v16, v214
	v_fmamk_f16 v178, v97, 0x3722, v224
	v_mul_f16_e32 v214, 0xbbf7, v177
	v_fmamk_f16 v227, v119, 0xbbdd, v225
	v_fmamk_f16 v228, v131, 0xb964, v226
	v_mul_f16_e32 v229, 0x3b29, v186
	v_add_f16_e32 v176, v178, v176
	v_fmamk_f16 v178, v99, 0x2de8, v214
	v_mul_f16_e32 v230, 0x3a62, v179
	v_add_f16_e32 v210, v227, v210
	v_fmamk_f16 v227, v130, 0x3722, v229
	v_add_f16_e32 v212, v228, v212
	v_add_f16_e32 v178, v178, v176
	v_fmamk_f16 v228, v103, 0xb8d2, v230
	v_mul_f16_e32 v231, 0xb5c8, v180
	v_add_f16_e32 v176, v227, v210
	v_mul_f16_e32 v227, 0xbbdd, v152
	v_mul_f16_e32 v232, 0xb1e1, v181
	v_add_f16_e32 v178, v228, v178
	v_fmamk_f16 v228, v110, 0x3b76, v231
	v_mul_f16_e32 v210, 0xb461, v141
	v_fmamk_f16 v234, v109, 0x31e1, v227
	v_mul_f16_e32 v235, 0x3b76, v151
	v_mul_f16_e32 v236, 0x3964, v183
	v_add_f16_e32 v178, v228, v178
	v_fmamk_f16 v228, v114, 0xbbdd, v232
	v_fmamk_f16 v233, v135, 0x3bb2, v210
	v_add_f16_sdwa v234, v16, v234 dst_sel:DWORD dst_unused:UNUSED_PAD src0_sel:WORD_1 src1_sel:DWORD
	v_fmamk_f16 v237, v108, 0xb5c8, v235
	v_mul_f16_e32 v238, 0xbacd, v150
	v_add_f16_e32 v228, v228, v178
	v_fmamk_f16 v239, v119, 0x39e9, v236
	v_add_f16_e32 v178, v233, v212
	v_add_f16_e32 v212, v237, v234
	v_fmamk_f16 v233, v113, 0x3836, v238
	v_mul_f16_e32 v234, 0x39e9, v144
	v_add_f16_e32 v228, v239, v228
	v_mul_f16_e32 v239, 0xb1e1, v169
	v_mul_f16_e32 v237, 0xbbb2, v186
	v_add_f16_e32 v169, v233, v212
	v_fmamk_f16 v212, v111, 0xb964, v234
	v_mul_f16_e32 v233, 0xb8d2, v148
	v_fmamk_f16 v241, v98, 0xbbdd, v239
	v_mul_f16_e32 v242, 0x35c8, v166
	v_fmamk_f16 v240, v130, 0xb461, v237
	v_add_f16_e32 v166, v212, v169
	v_fmamk_f16 v169, v112, 0x3a62, v233
	v_mul_f16_e32 v212, 0x3722, v147
	v_add_f16_e32 v241, v16, v241
	v_fmamk_f16 v243, v97, 0x3b76, v242
	v_mul_f16_e32 v244, 0xb836, v177
	v_add_f16_e32 v169, v169, v166
	v_fmamk_f16 v177, v124, 0xbb29, v212
	v_add_f16_e32 v166, v240, v228
	v_add_f16_e32 v228, v243, v241
	v_fmamk_f16 v240, v99, 0xbacd, v244
	v_mul_f16_e32 v241, 0x3964, v179
	v_add_f16_e32 v169, v177, v169
	v_fmac_f16_e32 v227, 0xb1e1, v109
	v_mul_f16_e32 v180, 0xba62, v180
	v_add_f16_e32 v177, v240, v228
	v_fmamk_f16 v228, v103, 0x39e9, v241
	v_fmac_f16_e32 v235, 0x35c8, v108
	v_add_f16_sdwa v227, v16, v227 dst_sel:DWORD dst_unused:UNUSED_PAD src0_sel:WORD_1 src1_sel:DWORD
	v_mul_f16_e32 v181, 0x3b29, v181
	v_fmac_f16_e32 v238, 0xb836, v113
	v_add_f16_e32 v177, v228, v177
	v_fmamk_f16 v228, v110, 0xb8d2, v180
	v_add_f16_e32 v227, v235, v227
	v_mul_f16_e32 v183, 0xbbb2, v183
	v_fmac_f16_e32 v234, 0x3964, v111
	v_mul_f16_e32 v186, 0x3bf7, v186
	v_add_f16_e32 v177, v228, v177
	v_fmamk_f16 v228, v114, 0x3722, v181
	v_add_f16_e32 v227, v238, v227
	v_fmac_f16_e32 v233, 0xba62, v112
	v_fmac_f16_e32 v205, 0xb836, v109
	v_mul_f16_e32 v179, 0xb461, v140
	v_add_f16_e32 v177, v228, v177
	v_fmamk_f16 v228, v119, 0xb461, v183
	v_add_f16_e32 v227, v234, v227
	v_fmac_f16_e32 v212, 0x3b29, v124
	v_add_f16_sdwa v205, v16, v205 dst_sel:DWORD dst_unused:UNUSED_PAD src0_sel:WORD_1 src1_sel:DWORD
	v_fmac_f16_e32 v208, 0x3b29, v108
	v_add_f16_e32 v177, v228, v177
	v_fmamk_f16 v228, v130, 0x2de8, v186
	v_add_f16_e32 v227, v233, v227
	v_fmamk_f16 v240, v131, 0x3bb2, v179
	v_fmac_f16_e32 v179, 0xbbb2, v131
	v_add_f16_e32 v205, v208, v205
	v_add_f16_e32 v177, v228, v177
	v_fma_f16 v228, v98, 0xbbdd, -v239
	v_add_f16_e32 v212, v212, v227
	v_fmac_f16_e32 v215, 0xbbf7, v113
	v_fmac_f16_e32 v217, 0x3a62, v111
	;; [unrolled: 1-line block ×3, first 2 shown]
	v_add_f16_e32 v227, v16, v228
	v_fma_f16 v228, v97, 0x3b76, -v242
	v_add_f16_e32 v179, v179, v212
	v_fma_f16 v212, v99, 0xbacd, -v244
	;; [unrolled: 2-line block ×4, first 2 shown]
	v_fmac_f16_e32 v221, 0xb1e1, v124
	v_add_f16_e32 v205, v217, v205
	v_add_f16_e32 v215, v16, v215
	;; [unrolled: 1-line block ×3, first 2 shown]
	v_fma_f16 v212, v103, 0x39e9, -v241
	v_fma_f16 v217, v97, 0x3722, -v224
	v_add_f16_e32 v205, v219, v205
	v_fma_f16 v214, v99, 0x2de8, -v214
	v_fmac_f16_e32 v200, 0xba62, v109
	v_add_f16_e32 v208, v212, v208
	v_add_f16_e32 v212, v217, v215
	v_fma_f16 v181, v114, 0x3722, -v181
	v_add_f16_e32 v205, v221, v205
	v_fmac_f16_e32 v226, 0x3964, v131
	v_add_f16_e32 v180, v180, v208
	v_add_f16_e32 v208, v214, v212
	v_fma_f16 v212, v103, 0xb8d2, -v230
	v_add_f16_sdwa v200, v16, v200 dst_sel:DWORD dst_unused:UNUSED_PAD src0_sel:WORD_1 src1_sel:DWORD
	v_fmac_f16_e32 v201, 0x3bb2, v108
	v_add_f16_e32 v180, v181, v180
	v_fma_f16 v181, v119, 0xb461, -v183
	v_add_f16_e32 v183, v226, v205
	v_add_f16_e32 v205, v212, v208
	v_fmac_f16_e32 v210, 0xbbb2, v135
	v_fma_f16 v208, v110, 0x3b76, -v231
	v_add_f16_e32 v200, v201, v200
	v_fmac_f16_e32 v202, 0xb5c8, v113
	v_fma_f16 v209, v98, 0xb8d2, -v209
	v_add_f16_e32 v180, v181, v180
	v_add_f16_e32 v181, v210, v183
	v_add_f16_e32 v183, v208, v205
	v_fma_f16 v205, v114, 0xbbdd, -v232
	v_add_f16_e32 v200, v202, v200
	v_fmac_f16_e32 v203, 0xb836, v111
	v_add_f16_e32 v209, v16, v209
	v_fma_f16 v211, v97, 0xb461, -v211
	v_fmac_f16_e32 v193, 0xbbb2, v109
	v_add_f16_e32 v183, v205, v183
	v_fma_f16 v205, v119, 0x39e9, -v236
	v_add_f16_e32 v200, v203, v200
	v_fmac_f16_e32 v204, 0x3bf7, v112
	v_add_f16_e32 v209, v211, v209
	v_fma_f16 v213, v99, 0x3b76, -v213
	v_add_f16_sdwa v193, v16, v193 dst_sel:DWORD dst_unused:UNUSED_PAD src0_sel:WORD_1 src1_sel:DWORD
	v_fmac_f16_e32 v191, 0x3836, v108
	v_mul_f16_e32 v208, 0x3b76, v98
	v_mul_f16_e32 v201, 0x3b76, v152
	;; [unrolled: 1-line block ×4, first 2 shown]
	v_add_f16_e32 v183, v205, v183
	v_mul_f16_e32 v205, 0x3722, v98
	v_mul_f16_e32 v152, 0x3722, v152
	v_fma_f16 v212, v130, 0xb461, -v237
	v_add_f16_e32 v200, v204, v200
	v_fmac_f16_e32 v206, 0xb964, v124
	v_add_f16_e32 v209, v213, v209
	v_fma_f16 v214, v103, 0xbacd, -v216
	v_add_f16_e32 v191, v191, v193
	v_fmac_f16_e32 v188, 0x3964, v113
	v_fma_f16 v196, v98, 0xb461, -v196
	v_fma_f16 v98, v98, 0x2de8, -v172
	v_mul_f16_e32 v203, 0x39e9, v97
	v_add_f16_e32 v183, v212, v183
	v_mul_f16_e32 v212, 0x39e9, v151
	v_mul_f16_e32 v204, 0x2de8, v97
	;; [unrolled: 1-line block ×3, first 2 shown]
	v_add_f16_e32 v200, v206, v200
	v_mul_f16_e32 v206, 0xb8d2, v97
	v_mul_f16_e32 v151, 0xb8d2, v151
	v_fmac_f16_e32 v207, 0xb1e1, v131
	v_add_f16_e32 v209, v214, v209
	v_fma_f16 v216, v110, 0x2de8, -v218
	v_add_f16_e32 v188, v188, v191
	v_fmac_f16_e32 v190, 0xbb29, v111
	v_add_f16_e32 v196, v16, v196
	v_fma_f16 v195, v97, 0xbacd, -v195
	v_fma_f16 v97, v97, 0xbbdd, -v168
	v_add_f16_e32 v149, v149, v152
	v_add_f16_e32 v98, v16, v98
	v_mul_f16_e32 v213, 0x3722, v99
	v_add_f16_e32 v200, v207, v200
	v_mul_f16_e32 v207, 0x3722, v150
	v_mul_f16_e32 v214, 0xb8d2, v99
	v_mul_f16_e32 v215, 0xb8d2, v150
	v_mul_f16_e32 v193, 0xbbdd, v99
	v_mul_f16_e32 v150, 0xbbdd, v150
	v_add_f16_e32 v209, v216, v209
	v_fma_f16 v217, v114, 0x39e9, -v220
	v_add_f16_e32 v188, v190, v188
	v_add_f16_e32 v195, v195, v196
	v_fma_f16 v199, v99, 0x39e9, -v199
	v_fmac_f16_e32 v189, 0xb1e1, v112
	v_fmac_f16_e32 v160, 0xbb29, v112
	v_add_f16_e32 v97, v97, v98
	v_fma_f16 v98, v99, 0xb461, -v164
	v_add_f16_sdwa v99, v16, v149 dst_sel:DWORD dst_unused:UNUSED_PAD src0_sel:WORD_1 src1_sel:DWORD
	v_add_f16_e32 v112, v142, v151
	v_mul_f16_e32 v216, 0x2de8, v103
	v_mul_f16_e32 v191, 0x2de8, v144
	v_add_f16_e32 v209, v217, v209
	v_mul_f16_e32 v217, 0xbbdd, v103
	v_mul_f16_e32 v190, 0xbbdd, v144
	;; [unrolled: 1-line block ×4, first 2 shown]
	v_add_f16_e32 v195, v199, v195
	v_fma_f16 v198, v103, 0x3722, -v198
	v_add_f16_e32 v188, v189, v188
	v_fmac_f16_e32 v187, 0x3bf7, v124
	v_add_f16_e32 v97, v98, v97
	v_fma_f16 v98, v103, 0x3b76, -v163
	v_add_f16_e32 v99, v112, v99
	v_add_f16_e32 v103, v143, v150
	v_mul_f16_e32 v199, 0xb461, v148
	v_add_f16_e32 v195, v198, v195
	v_mul_f16_e32 v198, 0xbacd, v148
	v_fma_f16 v197, v110, 0xbbdd, -v197
	v_mul_f16_e32 v148, 0x39e9, v148
	v_add_f16_e32 v187, v187, v188
	v_fmac_f16_e32 v175, 0xbbf7, v109
	v_fmac_f16_e32 v184, 0xb5c8, v131
	v_add_f16_e32 v97, v98, v97
	v_fma_f16 v98, v110, 0x3722, -v162
	v_add_f16_e32 v99, v103, v99
	v_add_f16_e32 v103, v145, v144
	v_mul_f16_e32 v188, 0xb8d2, v114
	v_add_f16_e32 v195, v197, v195
	v_mul_f16_e32 v197, 0xb8d2, v147
	v_mul_f16_e32 v109, 0xb461, v114
	v_fmac_f16_e32 v173, 0xb1e1, v108
	v_mul_f16_e32 v108, 0xb461, v147
	v_fma_f16 v194, v114, 0x2de8, -v194
	v_add_f16_sdwa v175, v16, v175 dst_sel:DWORD dst_unused:UNUSED_PAD src0_sel:WORD_1 src1_sel:DWORD
	v_add_f16_e32 v184, v184, v187
	v_mul_f16_e32 v187, 0x3b76, v114
	v_mul_f16_e32 v147, 0x3b76, v147
	v_fmac_f16_e32 v182, 0xba62, v135
	v_add_f16_e32 v97, v98, v97
	v_fma_f16 v98, v114, 0xbacd, -v174
	v_add_f16_e32 v99, v103, v99
	v_add_f16_e32 v103, v146, v148
	v_sub_f16_e32 v114, v205, v136
	v_fma_f16 v218, v119, 0xbbdd, -v225
	v_add_f16_e32 v194, v194, v195
	v_mul_f16_e32 v195, 0xbacd, v119
	v_add_f16_e32 v173, v173, v175
	v_mul_f16_e32 v175, 0xbacd, v140
	v_fmac_f16_e32 v165, 0x3bb2, v113
	v_mul_f16_e32 v113, 0x3722, v119
	v_fma_f16 v192, v119, 0x3b76, -v192
	v_mul_f16_e32 v172, 0x3722, v140
	v_add_f16_e32 v182, v182, v184
	v_mul_f16_e32 v184, 0x2de8, v119
	v_mul_f16_e32 v140, 0x2de8, v140
	v_add_f16_e32 v97, v98, v97
	v_fma_f16 v98, v119, 0xb8d2, -v170
	v_add_f16_e32 v99, v103, v99
	v_add_f16_e32 v103, v138, v147
	;; [unrolled: 1-line block ×3, first 2 shown]
	v_sub_f16_e32 v119, v206, v133
	v_add_f16_e32 v209, v218, v209
	v_fma_f16 v219, v130, 0x3722, -v229
	v_fmac_f16_e32 v159, 0xb836, v124
	v_add_f16_e32 v97, v98, v97
	v_fma_f16 v98, v130, 0x39e9, -v171
	v_add_f16_e32 v99, v103, v99
	v_add_f16_e32 v103, v139, v140
	;; [unrolled: 1-line block ×3, first 2 shown]
	v_sub_f16_e32 v119, v193, v134
	v_add_f16_e32 v124, v129, v202
	v_add_f16_e32 v209, v219, v209
	v_mul_f16_e32 v219, 0x39e9, v110
	v_add_f16_e32 v97, v98, v97
	v_add_f16_e32 v98, v103, v99
	;; [unrolled: 1-line block ×3, first 2 shown]
	v_sub_f16_e32 v103, v196, v132
	v_add_f16_sdwa v114, v16, v124 dst_sel:DWORD dst_unused:UNUSED_PAD src0_sel:WORD_1 src1_sel:DWORD
	v_add_f16_e32 v119, v125, v211
	v_sub_f16_e32 v118, v210, v118
	v_add_f16_e32 v80, v16, v80
	v_add_f16_sdwa v68, v16, v68 dst_sel:DWORD dst_unused:UNUSED_PAD src0_sel:WORD_1 src1_sel:DWORD
	v_add_f16_e32 v99, v103, v99
	v_sub_f16_e32 v103, v219, v126
	v_add_f16_e32 v114, v119, v114
	v_add_f16_e32 v119, v120, v215
	v_add_f16_e32 v118, v16, v118
	v_sub_f16_e32 v115, v204, v115
	v_add_f16_e32 v79, v80, v79
	v_add_f16_e32 v67, v68, v67
	;; [unrolled: 4-line block ×4, first 2 shown]
	v_mul_f16_e32 v189, 0xbacd, v110
	v_add_f16_e32 v99, v103, v99
	v_sub_f16_e32 v103, v184, v128
	v_add_f16_e32 v114, v119, v114
	v_add_f16_e32 v118, v122, v198
	;; [unrolled: 1-line block ×3, first 2 shown]
	v_sub_f16_e32 v116, v217, v117
	v_add_f16_e32 v77, v78, v77
	v_add_f16_e32 v63, v65, v63
	;; [unrolled: 1-line block ×5, first 2 shown]
	v_sub_f16_e32 v107, v189, v107
	v_add_f16_e32 v34, v77, v34
	v_add_f16_e32 v63, v63, v66
	v_sub_f16_e32 v68, v109, v101
	v_sub_f16_e32 v77, v208, v90
	v_add_f16_e32 v80, v107, v114
	v_add_f16_e32 v34, v34, v76
	;; [unrolled: 1-line block ×4, first 2 shown]
	v_mul_f16_e32 v218, 0xb461, v110
	v_add_f16_e32 v67, v68, v80
	v_sub_f16_e32 v68, v113, v102
	v_add_f16_e32 v34, v34, v75
	v_add_f16_e32 v37, v38, v37
	v_sub_f16_e32 v75, v203, v82
	v_add_f16_e32 v165, v165, v173
	v_add_f16_e32 v67, v68, v67
	;; [unrolled: 1-line block ×5, first 2 shown]
	v_sub_f16_e32 v37, v213, v86
	v_fmac_f16_e32 v161, 0x35c8, v111
	v_add_f16_sdwa v68, v16, v68 dst_sel:DWORD dst_unused:UNUSED_PAD src0_sel:WORD_1 src1_sel:DWORD
	v_add_f16_e32 v16, v16, v77
	v_add_f16_e32 v30, v33, v30
	;; [unrolled: 1-line block ×9, first 2 shown]
	v_sub_f16_e32 v34, v216, v87
	v_add_f16_e32 v38, v63, v38
	v_add_f16_e32 v16, v37, v16
	;; [unrolled: 1-line block ×7, first 2 shown]
	v_sub_f16_e32 v31, v218, v85
	v_add_f16_e32 v25, v27, v25
	v_add_f16_e32 v26, v29, v26
	;; [unrolled: 1-line block ×6, first 2 shown]
	v_sub_f16_e32 v27, v188, v83
	v_add_f16_e32 v19, v25, v19
	v_add_f16_e32 v18, v26, v18
	;; [unrolled: 1-line block ×5, first 2 shown]
	v_mul_f16_e32 v194, 0xbbdd, v130
	v_mul_f16_e32 v173, 0xbbdd, v141
	v_add_f16_e32 v29, v32, v30
	v_add_f16_e32 v25, v91, v175
	;; [unrolled: 1-line block ×3, first 2 shown]
	v_sub_f16_e32 v26, v195, v84
	v_add_f16_e32 v19, v19, v36
	v_add_f16_e32 v18, v18, v62
	v_mul_f16_e32 v235, 0x2de8, v141
	v_mul_f16_e32 v111, 0x3b76, v130
	;; [unrolled: 1-line block ×5, first 2 shown]
	v_add_f16_e32 v103, v108, v103
	v_add_f16_e32 v104, v104, v172
	v_add_f16_e32 v112, v159, v142
	v_fmac_f16_e32 v158, 0x3a62, v131
	v_add_f16_e32 v25, v25, v29
	v_add_f16_e32 v27, v89, v173
	;; [unrolled: 1-line block ×4, first 2 shown]
	v_mov_b32_e32 v26, 51
	v_add_f16_e32 v18, v18, v40
	v_sub_f16_e32 v28, v194, v81
	v_add_f16_e32 v124, v137, v141
	v_add_f16_e32 v101, v104, v103
	;; [unrolled: 1-line block ×3, first 2 shown]
	v_sub_f16_e32 v78, v152, v105
	v_sub_f16_e32 v66, v111, v100
	v_fma_f16 v185, v130, 0xb8d2, -v185
	v_add_f16_e32 v112, v158, v112
	v_fmac_f16_e32 v157, 0x3964, v135
	v_fmac_f16_e32 v222, 0x3b29, v135
	v_add_f16_e32 v169, v240, v169
	v_fmamk_f16 v238, v135, 0xbbf7, v235
	v_fmac_f16_e32 v235, 0x3bf7, v135
	v_fma_f16 v186, v130, 0x2de8, -v186
	v_add_f16_e32 v25, v27, v25
	v_add_f16_e32 v17, v19, v17
	v_mul_u32_u24_sdwa v19, v58, v26 dst_sel:DWORD dst_unused:UNUSED_PAD src0_sel:WORD_0 src1_sel:DWORD
	v_add_f16_e32 v18, v18, v35
	v_add_f16_e32 v16, v28, v16
	;; [unrolled: 1-line block ×11, first 2 shown]
	v_add_lshl_u32 v19, v19, v57, 2
	v_pack_b32_f16 v17, v17, v18
	v_pack_b32_f16 v16, v16, v25
	v_add_f16_e32 v30, v186, v180
	v_pack_b32_f16 v18, v26, v65
	v_pack_b32_f16 v25, v27, v98
	;; [unrolled: 1-line block ×6, first 2 shown]
	ds_write2_b32 v19, v17, v16 offset1:3
	ds_write2_b32 v19, v18, v25 offset0:6 offset1:9
	ds_write2_b32 v19, v26, v27 offset0:12 offset1:15
	;; [unrolled: 1-line block ×3, first 2 shown]
	v_pack_b32_f16 v16, v30, v179
	v_pack_b32_f16 v17, v177, v169
	;; [unrolled: 1-line block ×6, first 2 shown]
	v_perm_b32 v28, v73, v74, 0x5040100
	v_perm_b32 v29, v70, v72, 0x5040100
	;; [unrolled: 1-line block ×3, first 2 shown]
	ds_write2_b32 v19, v16, v17 offset0:24 offset1:27
	ds_write2_b32 v19, v18, v25 offset0:30 offset1:33
	;; [unrolled: 1-line block ×4, first 2 shown]
	ds_write_b32 v19, v30 offset:192
.LBB0_11:
	s_or_b32 exec_lo, exec_lo, s1
	v_mad_u64_u32 v[27:28], null, v53, 24, s[2:3]
	s_waitcnt lgkmcnt(0)
	s_barrier
	buffer_gl0_inv
	v_add_nc_u32_e32 v31, 0x400, v43
	v_add_nc_u32_e32 v33, 0x600, v43
	;; [unrolled: 1-line block ×3, first 2 shown]
	s_clause 0x1
	global_load_dwordx4 v[16:19], v[27:28], off offset:192
	global_load_dwordx2 v[25:26], v[27:28], off offset:208
	ds_read2_b32 v[29:30], v43 offset0:102 offset1:153
	ds_read2_b32 v[34:35], v43 offset0:204 offset1:255
	;; [unrolled: 1-line block ×6, first 2 shown]
	ds_read2_b32 v[66:67], v43 offset1:51
	v_mul_i32_i24_e32 v68, 0xffffffec, v53
	v_mul_hi_i32_i24_e32 v40, 0xffffffec, v53
	s_waitcnt vmcnt(0) lgkmcnt(0)
	s_barrier
	buffer_gl0_inv
	v_add_co_u32 v27, s1, v27, v68
	v_add_co_ci_u32_e64 v28, s1, v28, v40, s1
	v_lshrrev_b32_e32 v77, 16, v36
	v_lshrrev_b32_e32 v78, 16, v38
	;; [unrolled: 1-line block ×12, first 2 shown]
	v_mul_f16_sdwa v85, v40, v16 dst_sel:DWORD dst_unused:UNUSED_PAD src0_sel:DWORD src1_sel:WORD_1
	v_mul_f16_sdwa v86, v29, v16 dst_sel:DWORD dst_unused:UNUSED_PAD src0_sel:DWORD src1_sel:WORD_1
	;; [unrolled: 1-line block ×24, first 2 shown]
	v_fma_f16 v29, v29, v16, -v85
	v_fmac_f16_e32 v86, v40, v16
	v_fma_f16 v34, v34, v17, -v87
	v_fmac_f16_e32 v88, v68, v17
	;; [unrolled: 2-line block ×12, first 2 shown]
	v_add_f16_e32 v65, v29, v62
	v_add_f16_e32 v68, v86, v96
	;; [unrolled: 1-line block ×4, first 2 shown]
	v_sub_f16_e32 v29, v29, v62
	v_sub_f16_e32 v62, v86, v96
	;; [unrolled: 1-line block ×4, first 2 shown]
	v_add_f16_e32 v77, v36, v38
	v_add_f16_e32 v78, v90, v92
	v_sub_f16_e32 v36, v38, v36
	v_sub_f16_e32 v38, v92, v90
	v_add_f16_e32 v79, v30, v64
	v_add_f16_e32 v80, v98, v108
	;; [unrolled: 1-line block ×4, first 2 shown]
	v_sub_f16_e32 v30, v30, v64
	v_sub_f16_e32 v64, v98, v108
	;; [unrolled: 1-line block ×4, first 2 shown]
	v_add_f16_e32 v83, v37, v39
	v_sub_f16_e32 v37, v39, v37
	v_sub_f16_e32 v39, v104, v102
	v_add_f16_e32 v85, v75, v65
	v_add_f16_e32 v86, v76, v68
	;; [unrolled: 1-line block ×3, first 2 shown]
	v_sub_f16_e32 v87, v75, v65
	v_sub_f16_e32 v88, v76, v68
	v_sub_f16_e32 v65, v65, v77
	v_sub_f16_e32 v68, v68, v78
	v_sub_f16_e32 v75, v77, v75
	v_sub_f16_e32 v76, v78, v76
	v_add_f16_e32 v89, v36, v34
	v_add_f16_e32 v90, v38, v40
	v_sub_f16_e32 v91, v36, v34
	v_sub_f16_e32 v92, v38, v40
	;; [unrolled: 1-line block ×4, first 2 shown]
	v_add_f16_e32 v93, v81, v79
	v_add_f16_e32 v94, v82, v80
	v_sub_f16_e32 v95, v81, v79
	v_sub_f16_e32 v81, v83, v81
	v_add_f16_e32 v97, v37, v35
	v_add_f16_e32 v98, v39, v63
	v_sub_f16_e32 v99, v37, v35
	v_sub_f16_e32 v100, v39, v63
	;; [unrolled: 1-line block ×4, first 2 shown]
	v_add_f16_e32 v77, v77, v85
	v_add_f16_e32 v78, v78, v86
	v_sub_f16_e32 v36, v29, v36
	v_sub_f16_e32 v38, v62, v38
	;; [unrolled: 1-line block ×6, first 2 shown]
	v_add_f16_e32 v29, v89, v29
	v_add_f16_e32 v62, v90, v62
	v_mul_f16_e32 v65, 0x3a52, v65
	v_mul_f16_e32 v68, 0x3a52, v68
	;; [unrolled: 1-line block ×8, first 2 shown]
	v_add_f16_e32 v83, v83, v93
	v_add_f16_e32 v84, v84, v94
	v_sub_f16_e32 v37, v30, v37
	v_sub_f16_e32 v39, v64, v39
	v_add_f16_e32 v30, v97, v30
	v_add_f16_e32 v64, v98, v64
	v_mul_f16_e32 v93, 0x2b26, v81
	v_mul_f16_e32 v97, 0xb846, v99
	;; [unrolled: 1-line block ×5, first 2 shown]
	v_add_f16_e32 v101, v66, v77
	v_add_f16_sdwa v66, v66, v78 dst_sel:DWORD dst_unused:UNUSED_PAD src0_sel:WORD_1 src1_sel:DWORD
	v_mul_f16_e32 v79, 0x3a52, v79
	v_mul_f16_e32 v80, 0x3a52, v80
	;; [unrolled: 1-line block ×3, first 2 shown]
	v_fmamk_f16 v75, v75, 0x2b26, v65
	v_fmamk_f16 v76, v76, 0x2b26, v68
	v_fma_f16 v85, v87, 0x39e0, -v85
	v_fma_f16 v86, v88, 0x39e0, -v86
	;; [unrolled: 1-line block ×4, first 2 shown]
	v_fmamk_f16 v87, v36, 0x3574, v89
	v_fmamk_f16 v88, v38, 0x3574, v90
	v_fma_f16 v34, v34, 0x3b00, -v89
	v_fma_f16 v40, v40, 0x3b00, -v90
	v_fma_f16 v36, v36, 0xb574, -v91
	v_fma_f16 v38, v38, 0xb574, -v92
	v_add_f16_e32 v89, v67, v83
	v_add_f16_sdwa v67, v67, v84 dst_sel:DWORD dst_unused:UNUSED_PAD src0_sel:WORD_1 src1_sel:DWORD
	v_fma_f16 v90, v95, 0x39e0, -v93
	v_fmamk_f16 v92, v37, 0x3574, v97
	v_fmamk_f16 v93, v39, 0x3574, v98
	v_fma_f16 v35, v35, 0x3b00, -v97
	v_fma_f16 v63, v63, 0x3b00, -v98
	;; [unrolled: 1-line block ×4, first 2 shown]
	v_fmamk_f16 v77, v77, 0xbcab, v101
	v_fmamk_f16 v78, v78, 0xbcab, v66
	;; [unrolled: 1-line block ×4, first 2 shown]
	v_fma_f16 v91, v96, 0x39e0, -v94
	v_fma_f16 v79, v95, 0xb9e0, -v79
	;; [unrolled: 1-line block ×3, first 2 shown]
	v_fmac_f16_e32 v87, 0x370e, v29
	v_fmac_f16_e32 v88, 0x370e, v62
	;; [unrolled: 1-line block ×6, first 2 shown]
	v_fmamk_f16 v29, v83, 0xbcab, v89
	v_fmamk_f16 v62, v84, 0xbcab, v67
	v_fmac_f16_e32 v92, 0x370e, v30
	v_fmac_f16_e32 v93, 0x370e, v64
	;; [unrolled: 1-line block ×6, first 2 shown]
	v_pack_b32_f16 v30, v101, v66
	v_pack_b32_f16 v64, v89, v67
	v_add_f16_e32 v66, v75, v77
	v_add_f16_e32 v67, v76, v78
	;; [unrolled: 1-line block ×13, first 2 shown]
	v_sub_f16_e32 v80, v67, v87
	v_add_f16_e32 v83, v38, v65
	v_sub_f16_e32 v84, v68, v36
	v_sub_f16_e32 v85, v75, v40
	v_add_f16_e32 v86, v34, v76
	v_add_f16_e32 v40, v40, v75
	v_sub_f16_e32 v34, v76, v34
	v_sub_f16_e32 v38, v65, v38
	v_add_f16_e32 v36, v36, v68
	v_sub_f16_e32 v65, v66, v88
	v_add_f16_e32 v66, v87, v67
	v_add_f16_e32 v67, v93, v77
	v_sub_f16_e32 v68, v78, v92
	v_add_f16_e32 v75, v39, v29
	v_sub_f16_e32 v76, v62, v37
	v_sub_f16_e32 v29, v29, v39
	v_add_f16_e32 v37, v37, v62
	v_sub_f16_e32 v87, v81, v63
	v_add_f16_e32 v88, v35, v82
	v_add_f16_e32 v63, v63, v81
	v_sub_f16_e32 v35, v82, v35
	v_sub_f16_e32 v39, v77, v93
	v_add_f16_e32 v62, v92, v78
	v_pack_b32_f16 v77, v79, v80
	v_pack_b32_f16 v78, v83, v84
	;; [unrolled: 1-line block ×12, first 2 shown]
	ds_write2_b32 v43, v30, v77 offset1:51
	ds_write2_b32 v43, v78, v79 offset0:102 offset1:153
	ds_write2_b32 v43, v34, v36 offset0:204 offset1:255
	;; [unrolled: 1-line block ×6, first 2 shown]
	s_waitcnt lgkmcnt(0)
	s_barrier
	buffer_gl0_inv
	s_clause 0x1
	global_load_dword v65, v[27:28], off offset:1416
	global_load_dword v62, v[27:28], off offset:1620
	v_add_co_u32 v29, s1, 0x800, v27
	v_add_co_ci_u32_e64 v30, s1, 0, v28, s1
	s_clause 0x4
	global_load_dword v68, v[27:28], off offset:1824
	global_load_dword v66, v[27:28], off offset:2028
	;; [unrolled: 1-line block ×5, first 2 shown]
	ds_read2_b32 v[27:28], v43 offset1:51
	ds_read2_b32 v[29:30], v31 offset0:50 offset1:101
	ds_read2_b32 v[34:35], v31 offset0:152 offset1:203
	;; [unrolled: 1-line block ×6, first 2 shown]
	s_waitcnt lgkmcnt(6)
	v_lshrrev_b32_e32 v40, 16, v27
	s_waitcnt lgkmcnt(5)
	v_lshrrev_b32_e32 v79, 16, v30
	;; [unrolled: 2-line block ×3, first 2 shown]
	v_lshrrev_b32_e32 v83, 16, v35
	s_waitcnt lgkmcnt(2)
	v_lshrrev_b32_e32 v85, 16, v38
	v_lshrrev_b32_e32 v87, 16, v39
	s_waitcnt lgkmcnt(0)
	v_lshrrev_b32_e32 v89, 16, v75
	v_lshrrev_b32_e32 v91, 16, v76
	;; [unrolled: 1-line block ×8, first 2 shown]
	s_waitcnt vmcnt(6)
	v_mul_f16_sdwa v92, v79, v65 dst_sel:DWORD dst_unused:UNUSED_PAD src0_sel:DWORD src1_sel:WORD_1
	v_mul_f16_sdwa v93, v30, v65 dst_sel:DWORD dst_unused:UNUSED_PAD src0_sel:DWORD src1_sel:WORD_1
	s_waitcnt vmcnt(5)
	v_mul_f16_sdwa v94, v81, v62 dst_sel:DWORD dst_unused:UNUSED_PAD src0_sel:DWORD src1_sel:WORD_1
	v_mul_f16_sdwa v95, v34, v62 dst_sel:DWORD dst_unused:UNUSED_PAD src0_sel:DWORD src1_sel:WORD_1
	;; [unrolled: 3-line block ×7, first 2 shown]
	v_fma_f16 v30, v30, v65, -v92
	v_fmac_f16_e32 v93, v79, v65
	v_fma_f16 v34, v34, v62, -v94
	v_fmac_f16_e32 v95, v81, v62
	;; [unrolled: 2-line block ×7, first 2 shown]
	v_sub_f16_e32 v79, v27, v30
	v_sub_f16_e32 v81, v40, v93
	;; [unrolled: 1-line block ×14, first 2 shown]
	v_fma_f16 v27, v27, 2.0, -v79
	v_fma_f16 v40, v40, 2.0, -v81
	;; [unrolled: 1-line block ×14, first 2 shown]
	v_pack_b32_f16 v79, v79, v81
	v_pack_b32_f16 v27, v27, v40
	;; [unrolled: 1-line block ×13, first 2 shown]
	ds_write_b32 v43, v79 offset:1428
	v_pack_b32_f16 v78, v29, v75
	ds_write2_b32 v43, v27, v28 offset1:51
	ds_write2_b32 v31, v34, v35 offset0:152 offset1:203
	ds_write2_b32 v43, v36, v37 offset0:102 offset1:153
	;; [unrolled: 1-line block ×4, first 2 shown]
	ds_write_b32 v43, v78 offset:1224
	ds_write2_b32 v32, v81, v83 offset0:100 offset1:151
	s_waitcnt lgkmcnt(0)
	s_barrier
	buffer_gl0_inv
	global_load_dword v36, v[22:23], off offset:808
	v_add_co_u32 v27, s1, 0xb28, v20
	v_add_co_ci_u32_e64 v28, s1, 0, v21, s1
	s_clause 0x1
	global_load_dword v40, v[27:28], off offset:204
	global_load_dword v83, v[27:28], off offset:952
	v_add_co_u32 v34, s1, 0x1000, v20
	v_add_co_ci_u32_e64 v35, s1, 0, v21, s1
	s_clause 0x8
	global_load_dword v84, v[27:28], off offset:1904
	global_load_dword v85, v[27:28], off offset:1156
	;; [unrolled: 1-line block ×9, first 2 shown]
	ds_read2_b32 v[34:35], v43 offset1:51
	s_waitcnt lgkmcnt(0)
	v_lshrrev_b32_e32 v37, 16, v34
	v_lshrrev_b32_e32 v93, 16, v35
	s_waitcnt vmcnt(11)
	v_mul_f16_sdwa v38, v37, v36 dst_sel:DWORD dst_unused:UNUSED_PAD src0_sel:DWORD src1_sel:WORD_1
	v_mul_f16_sdwa v39, v34, v36 dst_sel:DWORD dst_unused:UNUSED_PAD src0_sel:DWORD src1_sel:WORD_1
	v_fma_f16 v34, v34, v36, -v38
	v_fmac_f16_e32 v39, v37, v36
	s_waitcnt vmcnt(10)
	v_mul_f16_sdwa v94, v93, v40 dst_sel:DWORD dst_unused:UNUSED_PAD src0_sel:DWORD src1_sel:WORD_1
	v_mul_f16_sdwa v95, v35, v40 dst_sel:DWORD dst_unused:UNUSED_PAD src0_sel:DWORD src1_sel:WORD_1
	v_pack_b32_f16 v36, v34, v39
	v_add_nc_u32_e32 v34, 0x200, v43
	v_fma_f16 v35, v35, v40, -v94
	v_fmac_f16_e32 v95, v93, v40
	ds_write_b32 v43, v36
	ds_read2_b32 v[36:37], v34 offset0:110 offset1:161
	ds_read2_b32 v[38:39], v33 offset0:92 offset1:143
	;; [unrolled: 1-line block ×5, first 2 shown]
	v_pack_b32_f16 v35, v35, v95
	s_waitcnt lgkmcnt(4)
	v_lshrrev_b32_e32 v40, 16, v36
	s_waitcnt vmcnt(9)
	v_mul_f16_sdwa v93, v36, v83 dst_sel:DWORD dst_unused:UNUSED_PAD src0_sel:DWORD src1_sel:WORD_1
	s_waitcnt lgkmcnt(3)
	v_lshrrev_b32_e32 v94, 16, v38
	s_waitcnt vmcnt(8)
	v_mul_f16_sdwa v95, v38, v84 dst_sel:DWORD dst_unused:UNUSED_PAD src0_sel:DWORD src1_sel:WORD_1
	v_lshrrev_b32_e32 v96, 16, v37
	s_waitcnt vmcnt(7)
	v_mul_f16_sdwa v97, v37, v85 dst_sel:DWORD dst_unused:UNUSED_PAD src0_sel:DWORD src1_sel:WORD_1
	;; [unrolled: 3-line block ×3, first 2 shown]
	s_waitcnt lgkmcnt(2)
	v_lshrrev_b32_e32 v100, 16, v77
	s_waitcnt vmcnt(5)
	v_mul_f16_sdwa v101, v77, v87 dst_sel:DWORD dst_unused:UNUSED_PAD src0_sel:DWORD src1_sel:WORD_1
	s_waitcnt lgkmcnt(1)
	v_lshrrev_b32_e32 v102, 16, v79
	s_waitcnt vmcnt(4)
	v_mul_f16_sdwa v103, v79, v88 dst_sel:DWORD dst_unused:UNUSED_PAD src0_sel:DWORD src1_sel:WORD_1
	;; [unrolled: 4-line block ×3, first 2 shown]
	v_lshrrev_b32_e32 v106, 16, v78
	s_waitcnt vmcnt(1)
	v_mul_f16_sdwa v107, v78, v91 dst_sel:DWORD dst_unused:UNUSED_PAD src0_sel:DWORD src1_sel:WORD_1
	v_lshrrev_b32_e32 v108, 16, v80
	v_mul_f16_sdwa v109, v80, v90 dst_sel:DWORD dst_unused:UNUSED_PAD src0_sel:DWORD src1_sel:WORD_1
	v_lshrrev_b32_e32 v110, 16, v82
	v_mul_f16_sdwa v112, v40, v83 dst_sel:DWORD dst_unused:UNUSED_PAD src0_sel:DWORD src1_sel:WORD_1
	v_fmac_f16_e32 v93, v40, v83
	v_mul_f16_sdwa v40, v94, v84 dst_sel:DWORD dst_unused:UNUSED_PAD src0_sel:DWORD src1_sel:WORD_1
	v_fmac_f16_e32 v95, v94, v84
	;; [unrolled: 2-line block ×8, first 2 shown]
	v_mul_f16_sdwa v106, v108, v90 dst_sel:DWORD dst_unused:UNUSED_PAD src0_sel:DWORD src1_sel:WORD_1
	s_waitcnt vmcnt(0)
	v_mul_f16_sdwa v111, v82, v92 dst_sel:DWORD dst_unused:UNUSED_PAD src0_sel:DWORD src1_sel:WORD_1
	v_fmac_f16_e32 v109, v108, v90
	v_mul_f16_sdwa v108, v110, v92 dst_sel:DWORD dst_unused:UNUSED_PAD src0_sel:DWORD src1_sel:WORD_1
	v_fma_f16 v38, v38, v84, -v40
	v_fma_f16 v40, v77, v87, -v98
	;; [unrolled: 1-line block ×9, first 2 shown]
	v_fmac_f16_e32 v111, v110, v92
	v_fma_f16 v81, v82, v92, -v108
	v_pack_b32_f16 v40, v40, v101
	v_pack_b32_f16 v37, v37, v97
	;; [unrolled: 1-line block ×10, first 2 shown]
	ds_write2_b32 v43, v35, v40 offset0:51 offset1:102
	ds_write2_b32 v31, v37, v77 offset0:33 offset1:84
	;; [unrolled: 1-line block ×5, first 2 shown]
	ds_write_b32 v43, v81 offset:2516
	s_and_saveexec_b32 s2, vcc_lo
	s_cbranch_execz .LBB0_13
; %bb.12:
	v_add_co_u32 v35, s1, 0x800, v27
	global_load_dword v37, v[27:28], off offset:816
	v_add_co_ci_u32_e64 v36, s1, 0, v28, s1
	s_clause 0x1
	global_load_dword v38, v[27:28], off offset:1768
	global_load_dword v35, v[35:36], off offset:672
	v_add_nc_u32_e32 v36, 0x300, v43
	ds_read2_b32 v[27:28], v36 offset0:12 offset1:250
	ds_read_b32 v39, v43 offset:2720
	s_waitcnt lgkmcnt(1)
	v_lshrrev_b32_e32 v40, 16, v27
	v_lshrrev_b32_e32 v77, 16, v28
	s_waitcnt lgkmcnt(0)
	v_lshrrev_b32_e32 v79, 16, v39
	s_waitcnt vmcnt(2)
	v_mul_f16_sdwa v78, v40, v37 dst_sel:DWORD dst_unused:UNUSED_PAD src0_sel:DWORD src1_sel:WORD_1
	v_mul_f16_sdwa v80, v27, v37 dst_sel:DWORD dst_unused:UNUSED_PAD src0_sel:DWORD src1_sel:WORD_1
	s_waitcnt vmcnt(1)
	v_mul_f16_sdwa v81, v77, v38 dst_sel:DWORD dst_unused:UNUSED_PAD src0_sel:DWORD src1_sel:WORD_1
	v_mul_f16_sdwa v82, v28, v38 dst_sel:DWORD dst_unused:UNUSED_PAD src0_sel:DWORD src1_sel:WORD_1
	v_fma_f16 v27, v27, v37, -v78
	s_waitcnt vmcnt(0)
	v_mul_f16_sdwa v78, v79, v35 dst_sel:DWORD dst_unused:UNUSED_PAD src0_sel:DWORD src1_sel:WORD_1
	v_mul_f16_sdwa v83, v39, v35 dst_sel:DWORD dst_unused:UNUSED_PAD src0_sel:DWORD src1_sel:WORD_1
	v_fmac_f16_e32 v80, v40, v37
	v_fma_f16 v28, v28, v38, -v81
	v_fmac_f16_e32 v82, v77, v38
	v_fma_f16 v37, v39, v35, -v78
	v_fmac_f16_e32 v83, v79, v35
	v_pack_b32_f16 v27, v27, v80
	v_pack_b32_f16 v28, v28, v82
	;; [unrolled: 1-line block ×3, first 2 shown]
	ds_write2_b32 v36, v27, v28 offset0:12 offset1:250
	ds_write_b32 v43, v35 offset:2720
.LBB0_13:
	s_or_b32 exec_lo, exec_lo, s2
	s_waitcnt lgkmcnt(0)
	s_barrier
	buffer_gl0_inv
	ds_read2_b32 v[37:38], v43 offset1:51
	ds_read2_b32 v[39:40], v34 offset0:110 offset1:161
	ds_read2_b32 v[27:28], v33 offset0:92 offset1:143
	;; [unrolled: 1-line block ×5, first 2 shown]
	s_and_saveexec_b32 s1, vcc_lo
	s_cbranch_execz .LBB0_15
; %bb.14:
	v_add_nc_u32_e32 v29, 0x300, v43
	ds_read2_b32 v[29:30], v29 offset0:12 offset1:250
	ds_read_b32 v74, v43 offset:2720
	s_waitcnt lgkmcnt(1)
	v_lshrrev_b32_e32 v75, 16, v29
	v_lshrrev_b32_e32 v76, 16, v30
	s_waitcnt lgkmcnt(0)
	v_lshrrev_b32_e32 v73, 16, v74
.LBB0_15:
	s_or_b32 exec_lo, exec_lo, s1
	s_waitcnt lgkmcnt(3)
	v_pk_add_f16 v77, v39, v27
	v_pk_add_f16 v78, v39, v27 neg_lo:[0,1] neg_hi:[0,1]
	v_pk_add_f16 v39, v37, v39
	v_pk_add_f16 v79, v40, v28
	v_pk_add_f16 v80, v40, v28 neg_lo:[0,1] neg_hi:[0,1]
	v_pk_fma_f16 v81, v77, 0.5, v37 op_sel_hi:[1,0,1] neg_lo:[1,0,0] neg_hi:[1,0,0]
	v_pk_add_f16 v37, v38, v40
	v_pk_mul_f16 v82, 0x3aee, v78 op_sel_hi:[0,1]
	v_pk_fma_f16 v83, v79, 0.5, v38 op_sel_hi:[1,0,1] neg_lo:[1,0,0] neg_hi:[1,0,0]
	s_waitcnt lgkmcnt(0)
	v_pk_add_f16 v38, v35, v31
	v_pk_add_f16 v27, v39, v27
	v_pk_add_f16 v40, v37, v28
	v_pk_add_f16 v28, v35, v31 neg_lo:[0,1] neg_hi:[0,1]
	v_pk_add_f16 v35, v33, v35
	v_pk_fma_f16 v84, v38, 0.5, v33 op_sel_hi:[1,0,1] neg_lo:[1,0,0] neg_hi:[1,0,0]
	v_pk_add_f16 v38, v36, v32 neg_lo:[0,1] neg_hi:[0,1]
	v_pk_add_f16 v37, v36, v32
	v_pk_add_f16 v79, v81, v82 op_sel:[0,1] op_sel_hi:[1,0] neg_lo:[0,1] neg_hi:[0,1]
	v_pk_add_f16 v33, v35, v31
	v_pk_add_f16 v31, v34, v36
	v_pk_mul_f16 v35, 0x3aee, v38 op_sel_hi:[0,1]
	v_add_f16_e32 v38, v73, v76
	v_add_f16_e32 v36, v74, v30
	v_pk_fma_f16 v34, v37, 0.5, v34 op_sel_hi:[1,0,1] neg_lo:[1,0,0] neg_hi:[1,0,0]
	v_pk_add_f16 v32, v31, v32
	v_add_f16_e32 v31, v30, v29
	v_sub_f16_e32 v30, v30, v74
	v_pk_add_f16 v39, v81, v82 op_sel:[0,1] op_sel_hi:[1,0]
	v_pk_mul_f16 v80, 0x3aee, v80 op_sel_hi:[0,1]
	v_fmac_f16_e32 v29, -0.5, v36
	v_add_f16_e32 v37, v74, v31
	v_add_f16_e32 v31, v76, v75
	v_fmac_f16_e32 v75, -0.5, v38
	v_sub_f16_e32 v36, v76, v73
	v_pk_mul_f16 v28, 0x3aee, v28 op_sel_hi:[0,1]
	v_pk_add_f16 v77, v83, v80 op_sel:[0,1] op_sel_hi:[1,0] neg_lo:[0,1] neg_hi:[0,1]
	v_add_f16_e32 v76, v73, v31
	v_fmamk_f16 v73, v30, 0x3aee, v75
	v_fmac_f16_e32 v75, 0xbaee, v30
	v_bfi_b32 v30, 0xffff, v39, v79
	v_bfi_b32 v31, 0xffff, v79, v39
	v_fmamk_f16 v38, v36, 0xbaee, v29
	v_fmac_f16_e32 v29, 0x3aee, v36
	v_pk_add_f16 v36, v83, v80 op_sel:[0,1] op_sel_hi:[1,0]
	v_pk_add_f16 v85, v84, v28 op_sel:[0,1] op_sel_hi:[1,0] neg_lo:[0,1] neg_hi:[0,1]
	s_barrier
	buffer_gl0_inv
	ds_write2_b32 v42, v31, v30 offset0:1 offset1:2
	v_pk_add_f16 v31, v84, v28 op_sel:[0,1] op_sel_hi:[1,0]
	v_pk_add_f16 v78, v34, v35 op_sel:[0,1] op_sel_hi:[1,0] neg_lo:[0,1] neg_hi:[0,1]
	ds_write_b32 v42, v27
	v_pk_add_f16 v42, v34, v35 op_sel:[0,1] op_sel_hi:[1,0]
	v_bfi_b32 v28, 0xffff, v36, v77
	v_bfi_b32 v30, 0xffff, v77, v36
	;; [unrolled: 1-line block ×6, first 2 shown]
	ds_write_b32 v41, v40
	ds_write2_b32 v41, v30, v28 offset0:1 offset1:2
	ds_write_b32 v60, v33
	ds_write2_b32 v60, v35, v34 offset0:1 offset1:2
	;; [unrolled: 2-line block ×3, first 2 shown]
	s_and_saveexec_b32 s1, vcc_lo
	s_cbranch_execz .LBB0_17
; %bb.16:
	v_lshlrev_b32_e32 v28, 2, v59
	v_perm_b32 v30, v73, v38, 0x5040100
	v_perm_b32 v34, v76, v37, 0x5040100
	;; [unrolled: 1-line block ×3, first 2 shown]
	ds_write2_b32 v28, v34, v30 offset1:1
	ds_write_b32 v28, v35 offset:8
.LBB0_17:
	s_or_b32 exec_lo, exec_lo, s1
	v_lshrrev_b32_e32 v74, 16, v36
	v_lshrrev_b32_e32 v83, 16, v31
	;; [unrolled: 1-line block ×4, first 2 shown]
	s_waitcnt lgkmcnt(0)
	s_barrier
	buffer_gl0_inv
	s_and_saveexec_b32 s1, s0
	s_cbranch_execz .LBB0_19
; %bb.18:
	v_add_nc_u32_e32 v29, 0x200, v43
	v_add_nc_u32_e32 v31, 0x400, v43
	;; [unrolled: 1-line block ×4, first 2 shown]
	ds_read2_b32 v[27:28], v43 offset1:42
	ds_read2_b32 v[35:36], v43 offset0:168 offset1:210
	ds_read_b32 v69, v43 offset:2688
	ds_read2_b32 v[39:40], v43 offset0:84 offset1:126
	ds_read2_b32 v[33:34], v29 offset0:124 offset1:166
	;; [unrolled: 1-line block ×6, first 2 shown]
	s_waitcnt lgkmcnt(4)
	v_lshrrev_b32_e32 v83, 16, v34
	v_lshrrev_b32_e32 v59, 16, v28
	;; [unrolled: 1-line block ×4, first 2 shown]
	v_bfi_b32 v77, 0xffff, v35, v36
	v_bfi_b32 v79, 0xffff, v28, v39
	s_waitcnt lgkmcnt(3)
	v_lshrrev_b32_e32 v86, 16, v41
	s_waitcnt lgkmcnt(2)
	v_lshrrev_b32_e32 v76, 16, v37
	v_lshrrev_b32_e32 v73, 16, v38
	s_waitcnt lgkmcnt(1)
	v_lshrrev_b32_e32 v75, 16, v29
	v_lshrrev_b32_e32 v70, 16, v30
	v_bfi_b32 v78, 0xffff, v41, v42
	s_waitcnt lgkmcnt(0)
	v_bfi_b32 v85, 0xffff, v34, v31
	v_mov_b32_e32 v72, v30
.LBB0_19:
	s_or_b32 exec_lo, exec_lo, s1
	s_barrier
	buffer_gl0_inv
	s_and_saveexec_b32 s1, s0
	s_cbranch_execz .LBB0_21
; %bb.20:
	v_mul_f16_sdwa v41, v8, v59 dst_sel:DWORD dst_unused:UNUSED_PAD src0_sel:WORD_1 src1_sel:DWORD
	v_mul_f16_sdwa v30, v15, v71 dst_sel:DWORD dst_unused:UNUSED_PAD src0_sel:WORD_1 src1_sel:DWORD
	v_lshrrev_b32_e32 v35, 16, v79
	v_mul_f16_sdwa v28, v15, v69 dst_sel:DWORD dst_unused:UNUSED_PAD src0_sel:WORD_1 src1_sel:DWORD
	v_mul_f16_sdwa v60, v8, v79 dst_sel:DWORD dst_unused:UNUSED_PAD src0_sel:WORD_1 src1_sel:DWORD
	v_fmac_f16_e32 v41, v8, v79
	v_fmac_f16_e32 v30, v15, v69
	v_mul_f16_sdwa v61, v9, v35 dst_sel:DWORD dst_unused:UNUSED_PAD src0_sel:WORD_1 src1_sel:DWORD
	v_mul_f16_sdwa v34, v14, v70 dst_sel:DWORD dst_unused:UNUSED_PAD src0_sel:WORD_1 src1_sel:DWORD
	v_fma_f16 v28, v15, v71, -v28
	v_fma_f16 v59, v8, v59, -v60
	v_sub_f16_e32 v15, v41, v30
	v_fmac_f16_e32 v61, v9, v39
	v_mul_f16_sdwa v60, v14, v72 dst_sel:DWORD dst_unused:UNUSED_PAD src0_sel:WORD_1 src1_sel:DWORD
	v_mul_f16_sdwa v39, v9, v39 dst_sel:DWORD dst_unused:UNUSED_PAD src0_sel:WORD_1 src1_sel:DWORD
	v_lshrrev_b32_e32 v71, 16, v40
	v_fmac_f16_e32 v34, v14, v72
	v_mul_f16_e32 v108, 0xbbf7, v15
	v_add_f16_e32 v82, v28, v59
	v_fma_f16 v14, v14, v70, -v60
	v_fma_f16 v60, v9, v35, -v39
	v_mul_f16_sdwa v69, v10, v71 dst_sel:DWORD dst_unused:UNUSED_PAD src0_sel:WORD_1 src1_sel:DWORD
	v_mul_f16_sdwa v35, v13, v75 dst_sel:DWORD dst_unused:UNUSED_PAD src0_sel:WORD_1 src1_sel:DWORD
	v_sub_f16_e32 v8, v61, v34
	v_fmamk_f16 v9, v82, 0x2de8, v108
	v_add_f16_e32 v84, v14, v60
	v_fmac_f16_e32 v69, v10, v40
	v_fmac_f16_e32 v35, v13, v29
	v_mul_f16_sdwa v29, v13, v29 dst_sel:DWORD dst_unused:UNUSED_PAD src0_sel:WORD_1 src1_sel:DWORD
	v_mul_f16_sdwa v40, v10, v40 dst_sel:DWORD dst_unused:UNUSED_PAD src0_sel:WORD_1 src1_sel:DWORD
	v_mul_f16_e32 v110, 0xb1e1, v8
	v_add_f16_sdwa v72, v27, v9 dst_sel:DWORD dst_unused:UNUSED_PAD src0_sel:WORD_1 src1_sel:DWORD
	v_mul_f16_sdwa v39, v12, v73 dst_sel:DWORD dst_unused:UNUSED_PAD src0_sel:WORD_1 src1_sel:DWORD
	v_sub_f16_e32 v9, v69, v35
	v_fma_f16 v13, v13, v75, -v29
	v_fma_f16 v40, v10, v71, -v40
	v_fmamk_f16 v79, v84, 0xbbdd, v110
	v_mul_f16_sdwa v70, v11, v74 dst_sel:DWORD dst_unused:UNUSED_PAD src0_sel:WORD_1 src1_sel:DWORD
	v_fmac_f16_e32 v39, v12, v38
	v_mul_f16_sdwa v29, v12, v38 dst_sel:DWORD dst_unused:UNUSED_PAD src0_sel:WORD_1 src1_sel:DWORD
	v_mul_f16_sdwa v38, v11, v77 dst_sel:DWORD dst_unused:UNUSED_PAD src0_sel:WORD_1 src1_sel:DWORD
	v_mul_f16_e32 v111, 0x3bb2, v9
	v_add_f16_e32 v87, v13, v40
	v_fmac_f16_e32 v70, v11, v77
	v_fma_f16 v12, v12, v73, -v29
	v_fma_f16 v71, v11, v74, -v38
	v_lshrrev_b32_e32 v29, 16, v77
	v_add_f16_e32 v11, v79, v72
	v_fmamk_f16 v38, v87, 0xb461, v111
	v_lshrrev_b32_e32 v79, 16, v33
	v_lshrrev_b32_e32 v72, 16, v78
	v_mul_f16_sdwa v74, v0, v29 dst_sel:DWORD dst_unused:UNUSED_PAD src0_sel:WORD_1 src1_sel:DWORD
	v_sub_f16_e32 v10, v70, v39
	v_add_f16_e32 v80, v38, v11
	v_mul_f16_sdwa v38, v7, v76 dst_sel:DWORD dst_unused:UNUSED_PAD src0_sel:WORD_1 src1_sel:DWORD
	v_mul_f16_sdwa v77, v1, v79 dst_sel:DWORD dst_unused:UNUSED_PAD src0_sel:WORD_1 src1_sel:DWORD
	v_fmac_f16_e32 v74, v0, v36
	v_mul_f16_sdwa v36, v0, v36 dst_sel:DWORD dst_unused:UNUSED_PAD src0_sel:WORD_1 src1_sel:DWORD
	v_mul_f16_sdwa v73, v6, v72 dst_sel:DWORD dst_unused:UNUSED_PAD src0_sel:WORD_1 src1_sel:DWORD
	v_fmac_f16_e32 v38, v7, v37
	v_mul_f16_sdwa v37, v7, v37 dst_sel:DWORD dst_unused:UNUSED_PAD src0_sel:WORD_1 src1_sel:DWORD
	v_mul_f16_e32 v112, 0x35c8, v10
	v_add_f16_e32 v89, v12, v71
	v_fma_f16 v75, v0, v29, -v36
	v_sub_f16_e32 v11, v74, v38
	v_fma_f16 v37, v7, v76, -v37
	v_fmac_f16_e32 v77, v1, v33
	v_fmac_f16_e32 v73, v6, v42
	v_mul_f16_sdwa v7, v6, v42 dst_sel:DWORD dst_unused:UNUSED_PAD src0_sel:WORD_1 src1_sel:DWORD
	v_mul_f16_sdwa v29, v1, v33 dst_sel:DWORD dst_unused:UNUSED_PAD src0_sel:WORD_1 src1_sel:DWORD
	v_fmamk_f16 v81, v89, 0x3b76, v112
	v_mul_f16_e32 v116, 0xbb29, v11
	v_add_f16_e32 v96, v37, v75
	v_sub_f16_e32 v0, v77, v73
	v_fma_f16 v72, v6, v72, -v7
	v_fma_f16 v79, v1, v79, -v29
	v_add_f16_e32 v1, v81, v80
	v_fmamk_f16 v6, v96, 0x3722, v116
	v_mul_f16_e32 v114, 0xb836, v0
	v_mul_f16_sdwa v81, v2, v83 dst_sel:DWORD dst_unused:UNUSED_PAD src0_sel:WORD_1 src1_sel:DWORD
	v_add_f16_e32 v97, v72, v79
	v_mul_f16_sdwa v80, v5, v86 dst_sel:DWORD dst_unused:UNUSED_PAD src0_sel:WORD_1 src1_sel:DWORD
	v_mul_f16_sdwa v7, v5, v78 dst_sel:DWORD dst_unused:UNUSED_PAD src0_sel:WORD_1 src1_sel:DWORD
	v_sub_f16_e32 v99, v59, v28
	v_add_f16_e32 v1, v6, v1
	v_fmamk_f16 v6, v97, 0xbacd, v114
	v_fmac_f16_e32 v81, v2, v85
	v_fmac_f16_e32 v80, v5, v78
	v_mul_f16_sdwa v29, v2, v85 dst_sel:DWORD dst_unused:UNUSED_PAD src0_sel:WORD_1 src1_sel:DWORD
	v_fma_f16 v78, v5, v86, -v7
	v_add_f16_e32 v5, v30, v41
	v_mul_f16_e32 v126, 0xbbf7, v99
	v_sub_f16_e32 v94, v60, v14
	v_add_f16_e32 v33, v6, v1
	v_sub_f16_e32 v1, v81, v80
	v_fma_f16 v83, v2, v83, -v29
	v_lshrrev_b32_e32 v36, 16, v85
	v_lshrrev_b32_e32 v42, 16, v32
	v_fma_f16 v7, v5, 0x2de8, -v126
	v_add_f16_e32 v6, v34, v61
	v_mul_f16_e32 v118, 0xb1e1, v94
	v_sub_f16_e32 v95, v40, v13
	v_mul_f16_e32 v115, 0x3a62, v1
	v_add_f16_e32 v91, v78, v83
	v_mul_f16_sdwa v88, v3, v36 dst_sel:DWORD dst_unused:UNUSED_PAD src0_sel:WORD_1 src1_sel:DWORD
	v_mul_f16_sdwa v86, v4, v42 dst_sel:DWORD dst_unused:UNUSED_PAD src0_sel:WORD_1 src1_sel:DWORD
	v_add_f16_e32 v29, v27, v7
	v_fma_f16 v76, v6, 0xbbdd, -v118
	v_add_f16_e32 v7, v35, v69
	v_mul_f16_e32 v120, 0x3bb2, v95
	v_sub_f16_e32 v98, v71, v12
	v_fmamk_f16 v2, v91, 0xb8d2, v115
	v_fmac_f16_e32 v88, v3, v31
	v_fmac_f16_e32 v86, v4, v32
	v_mul_f16_sdwa v32, v4, v32 dst_sel:DWORD dst_unused:UNUSED_PAD src0_sel:WORD_1 src1_sel:DWORD
	v_mul_f16_sdwa v31, v3, v31 dst_sel:DWORD dst_unused:UNUSED_PAD src0_sel:WORD_1 src1_sel:DWORD
	v_add_f16_e32 v76, v76, v29
	v_fma_f16 v85, v7, 0xb461, -v120
	v_add_f16_e32 v29, v39, v70
	v_mul_f16_e32 v122, 0x35c8, v98
	v_sub_f16_e32 v100, v75, v37
	v_add_f16_e32 v33, v2, v33
	v_sub_f16_e32 v2, v88, v86
	v_fma_f16 v90, v4, v42, -v32
	v_fma_f16 v93, v3, v36, -v31
	v_add_f16_e32 v3, v85, v76
	v_fma_f16 v31, v29, 0x3b76, -v122
	v_add_f16_e32 v4, v38, v74
	v_mul_f16_e32 v123, 0xbb29, v100
	v_sub_f16_e32 v101, v79, v72
	v_mul_f16_e32 v121, 0x3964, v2
	v_add_f16_e32 v104, v90, v93
	v_add_f16_e32 v3, v31, v3
	v_fma_f16 v32, v4, 0x3722, -v123
	v_add_f16_e32 v31, v73, v77
	v_mul_f16_e32 v124, 0xb836, v101
	v_fmamk_f16 v36, v104, 0x39e9, v121
	v_sub_f16_e32 v102, v83, v78
	v_add_f16_e32 v42, v32, v3
	v_mul_f16_e32 v129, 0xbbb2, v15
	v_fma_f16 v76, v31, 0xbacd, -v124
	v_add_f16_e32 v3, v36, v33
	v_add_f16_e32 v32, v80, v81
	v_mul_f16_e32 v127, 0x3a62, v102
	v_sub_f16_e32 v103, v93, v90
	v_add_f16_e32 v36, v76, v42
	v_fmamk_f16 v42, v82, 0xb461, v129
	v_mul_f16_e32 v139, 0x3836, v8
	v_fma_f16 v76, v32, 0xb8d2, -v127
	v_add_f16_e32 v33, v86, v88
	v_mul_f16_e32 v125, 0x3964, v103
	v_add_f16_sdwa v42, v27, v42 dst_sel:DWORD dst_unused:UNUSED_PAD src0_sel:WORD_1 src1_sel:DWORD
	v_fmamk_f16 v85, v84, 0xbacd, v139
	v_mul_f16_e32 v130, 0x3964, v9
	v_add_f16_e32 v36, v76, v36
	v_fma_f16 v76, v33, 0x39e9, -v125
	v_mul_f16_e32 v140, 0xbbb2, v99
	v_add_f16_e32 v42, v85, v42
	v_fmamk_f16 v85, v87, 0x39e9, v130
	v_mul_f16_e32 v141, 0xbb29, v10
	v_add_f16_e32 v36, v76, v36
	v_fma_f16 v76, v5, 0xb461, -v140
	v_mul_f16_e32 v142, 0x3836, v94
	v_add_f16_e32 v42, v85, v42
	v_fmamk_f16 v85, v89, 0x3722, v141
	v_mul_f16_e32 v143, 0xb1e1, v11
	v_add_f16_e32 v76, v27, v76
	v_fma_f16 v92, v6, 0xbacd, -v142
	v_mul_f16_e32 v133, 0x3964, v95
	v_add_f16_e32 v42, v85, v42
	v_fmamk_f16 v85, v96, 0xbbdd, v143
	v_mul_f16_e32 v132, 0x3bf7, v0
	v_add_f16_e32 v76, v92, v76
	v_fma_f16 v92, v7, 0x39e9, -v133
	v_mul_f16_e32 v135, 0xbb29, v98
	v_add_f16_e32 v42, v85, v42
	v_fmamk_f16 v85, v97, 0x2de8, v132
	v_mul_f16_e32 v134, 0xb5c8, v1
	v_add_f16_e32 v76, v92, v76
	v_fma_f16 v92, v29, 0x3722, -v135
	v_mul_f16_e32 v138, 0xb1e1, v100
	v_add_f16_e32 v42, v85, v42
	v_fmamk_f16 v85, v91, 0x3b76, v134
	v_mul_f16_e32 v137, 0xba62, v2
	v_add_f16_e32 v76, v92, v76
	v_fma_f16 v92, v4, 0xbbdd, -v138
	v_mul_f16_e32 v144, 0x3bf7, v101
	v_add_f16_e32 v42, v85, v42
	v_fmamk_f16 v85, v104, 0xb8d2, v137
	v_mul_f16_e32 v119, 0xba62, v15
	v_add_f16_e32 v76, v92, v76
	v_fma_f16 v92, v31, 0x2de8, -v144
	v_mul_f16_e32 v136, 0xb5c8, v102
	v_add_f16_e32 v42, v85, v42
	v_fmamk_f16 v85, v82, 0xb8d2, v119
	v_mul_f16_e32 v128, 0x3bb2, v8
	v_add_f16_e32 v76, v92, v76
	v_fma_f16 v92, v32, 0x3b76, -v136
	v_mul_f16_e32 v131, 0xba62, v103
	v_add_f16_sdwa v85, v27, v85 dst_sel:DWORD dst_unused:UNUSED_PAD src0_sel:WORD_1 src1_sel:DWORD
	v_fmamk_f16 v105, v84, 0xb461, v128
	v_mul_f16_e32 v145, 0xb5c8, v9
	v_add_f16_e32 v76, v92, v76
	v_fma_f16 v92, v33, 0xb8d2, -v131
	v_mul_f16_e32 v146, 0xba62, v99
	v_add_f16_e32 v85, v105, v85
	v_fmamk_f16 v105, v87, 0x3b76, v145
	v_mul_f16_e32 v147, 0xb836, v10
	v_add_f16_e32 v76, v92, v76
	v_fma_f16 v92, v5, 0xb8d2, -v146
	v_mul_f16_e32 v148, 0x3bb2, v94
	v_add_f16_e32 v85, v105, v85
	v_fmamk_f16 v105, v89, 0xbacd, v147
	v_mul_f16_e32 v149, 0x3bf7, v11
	v_add_f16_e32 v92, v27, v92
	v_fma_f16 v106, v6, 0xb461, -v148
	v_mul_f16_e32 v150, 0xb5c8, v95
	v_add_f16_e32 v85, v105, v85
	v_fmamk_f16 v105, v96, 0x2de8, v149
	v_mul_f16_e32 v151, 0xb964, v0
	v_add_f16_e32 v92, v106, v92
	v_fma_f16 v106, v7, 0x3b76, -v150
	v_mul_f16_e32 v152, 0xb836, v98
	v_add_f16_e32 v85, v105, v85
	v_fmamk_f16 v105, v97, 0x39e9, v151
	v_mul_f16_e32 v153, 0xb1e1, v1
	v_add_f16_e32 v92, v106, v92
	v_fma_f16 v106, v29, 0xbacd, -v152
	v_mul_f16_e32 v154, 0x3bf7, v100
	v_add_f16_e32 v85, v105, v85
	v_fmamk_f16 v105, v91, 0xbbdd, v153
	v_mul_f16_e32 v155, 0x3b29, v2
	v_add_f16_e32 v92, v106, v92
	v_fma_f16 v106, v4, 0x2de8, -v154
	v_mul_f16_e32 v156, 0xb964, v101
	v_add_f16_e32 v85, v105, v85
	v_fmamk_f16 v105, v104, 0x3722, v155
	v_mul_f16_e32 v113, 0xb836, v15
	v_add_f16_e32 v92, v106, v92
	v_fma_f16 v106, v31, 0x39e9, -v156
	v_mul_f16_e32 v157, 0xb1e1, v102
	v_add_f16_e32 v85, v105, v85
	v_fmamk_f16 v105, v82, 0xbacd, v113
	v_mul_f16_e32 v117, 0x3b29, v8
	v_add_f16_e32 v92, v106, v92
	v_fma_f16 v106, v32, 0xbbdd, -v157
	;; [unrolled: 48-line block ×3, first 2 shown]
	v_mul_f16_e32 v174, 0xbbb2, v103
	v_add_f16_sdwa v107, v27, v107 dst_sel:DWORD dst_unused:UNUSED_PAD src0_sel:WORD_1 src1_sel:DWORD
	v_fmamk_f16 v175, v84, 0x3b76, v173
	v_mul_f16_e32 v176, 0xb836, v9
	v_add_f16_e32 v106, v109, v106
	v_fma_f16 v109, v33, 0xb461, -v174
	v_mul_f16_e32 v177, 0xb1e1, v99
	v_add_f16_e32 v107, v175, v107
	v_fmamk_f16 v175, v87, 0xbacd, v176
	v_mul_f16_e32 v178, 0x3964, v10
	v_add_f16_e32 v106, v109, v106
	v_fma_f16 v109, v5, 0xbbdd, -v177
	v_mul_f16_e32 v179, 0x35c8, v94
	v_add_f16_e32 v107, v175, v107
	;; [unrolled: 6-line block ×5, first 2 shown]
	v_fmamk_f16 v175, v91, 0xb461, v185
	v_mul_f16_e32 v187, 0x3bf7, v2
	v_add_f16_e32 v109, v181, v109
	v_fma_f16 v181, v4, 0xb8d2, -v186
	v_mul_f16_e32 v188, 0x3b29, v101
	v_fma_f16 v171, v82, 0xbbdd, -v171
	v_add_f16_e32 v107, v175, v107
	v_fmamk_f16 v175, v104, 0x2de8, v187
	v_add_f16_e32 v109, v181, v109
	v_fma_f16 v181, v31, 0x3722, -v188
	v_add_f16_sdwa v171, v27, v171 dst_sel:DWORD dst_unused:UNUSED_PAD src0_sel:WORD_1 src1_sel:DWORD
	v_fma_f16 v173, v84, 0x3b76, -v173
	v_add_f16_e32 v107, v175, v107
	v_mul_f16_e32 v175, 0xbbb2, v102
	v_fmac_f16_e32 v177, 0xbbdd, v5
	v_fma_f16 v119, v82, 0xb8d2, -v119
	v_add_f16_e32 v109, v181, v109
	v_add_f16_e32 v171, v173, v171
	v_fma_f16 v173, v87, 0xbacd, -v176
	v_fma_f16 v176, v32, 0xb461, -v175
	v_mul_f16_e32 v181, 0x3bf7, v103
	v_add_f16_e32 v177, v27, v177
	v_fmac_f16_e32 v179, 0x3b76, v6
	v_add_f16_sdwa v119, v27, v119 dst_sel:DWORD dst_unused:UNUSED_PAD src0_sel:WORD_1 src1_sel:DWORD
	v_fma_f16 v128, v84, 0xb461, -v128
	v_add_f16_e32 v109, v176, v109
	v_fma_f16 v176, v33, 0x2de8, -v181
	v_add_f16_e32 v177, v179, v177
	v_fmac_f16_e32 v182, 0xbacd, v7
	v_add_f16_e32 v128, v128, v119
	v_fma_f16 v145, v87, 0x3b76, -v145
	v_add_f16_e32 v109, v176, v109
	v_fma_f16 v113, v82, 0xbacd, -v113
	v_add_f16_e32 v176, v182, v177
	v_fmac_f16_e32 v184, 0x39e9, v29
	v_add_f16_e32 v128, v145, v128
	v_fma_f16 v145, v89, 0xbacd, -v147
	v_fma_f16 v108, v82, 0x2de8, -v108
	v_add_f16_sdwa v113, v27, v113 dst_sel:DWORD dst_unused:UNUSED_PAD src0_sel:WORD_1 src1_sel:DWORD
	v_fma_f16 v117, v84, 0x3722, -v117
	v_add_f16_e32 v176, v184, v176
	v_fmac_f16_e32 v186, 0xb8d2, v4
	v_fmac_f16_e32 v146, 0xb8d2, v5
	v_add_f16_e32 v128, v145, v128
	v_fma_f16 v145, v96, 0x2de8, -v149
	v_add_f16_sdwa v108, v27, v108 dst_sel:DWORD dst_unused:UNUSED_PAD src0_sel:WORD_1 src1_sel:DWORD
	v_fma_f16 v110, v84, 0xbbdd, -v110
	v_add_f16_e32 v113, v117, v113
	v_fma_f16 v117, v87, 0x2de8, -v159
	v_add_f16_e32 v159, v186, v176
	v_fmac_f16_e32 v188, 0x3722, v31
	v_add_f16_e32 v146, v27, v146
	v_fmac_f16_e32 v148, 0xb461, v6
	v_add_f16_e32 v128, v145, v128
	v_fma_f16 v145, v97, 0x39e9, -v151
	v_fmac_f16_e32 v140, 0xb461, v5
	v_add_f16_e32 v108, v110, v108
	v_fma_f16 v110, v87, 0xb461, -v111
	v_add_f16_e32 v117, v117, v113
	v_fma_f16 v161, v89, 0xb8d2, -v161
	v_add_f16_e32 v159, v188, v159
	v_fmac_f16_e32 v175, 0xb461, v32
	v_fmac_f16_e32 v160, 0xbacd, v5
	v_add_f16_e32 v146, v148, v146
	v_add_f16_e32 v145, v145, v128
	v_fma_f16 v148, v91, 0xbbdd, -v153
	v_fma_f16 v129, v82, 0xb461, -v129
	v_add_f16_e32 v140, v27, v140
	v_fmac_f16_e32 v142, 0xbacd, v6
	v_add_f16_e32 v110, v110, v108
	v_fma_f16 v112, v89, 0x3b76, -v112
	v_fmac_f16_e32 v126, 0x2de8, v5
	v_add_f16_e32 v117, v161, v117
	v_fma_f16 v161, v96, 0x3b76, -v163
	v_add_f16_e32 v159, v175, v159
	v_fmac_f16_e32 v181, 0x2de8, v33
	v_add_f16_e32 v160, v27, v160
	v_fmac_f16_e32 v162, 0x3722, v6
	v_add_f16_e32 v145, v148, v145
	v_add_f16_sdwa v148, v27, v129 dst_sel:DWORD dst_unused:UNUSED_PAD src0_sel:WORD_1 src1_sel:DWORD
	v_fma_f16 v139, v84, 0xbacd, -v139
	v_add_f16_e32 v140, v142, v140
	v_fmac_f16_e32 v133, 0x39e9, v7
	v_add_f16_e32 v110, v112, v110
	v_fma_f16 v112, v96, 0x3722, -v116
	v_add_f16_e32 v116, v27, v126
	v_fmac_f16_e32 v118, 0xbbdd, v6
	v_add_f16_e32 v161, v161, v117
	v_add_f16_e32 v117, v181, v159
	;; [unrolled: 1-line block ×3, first 2 shown]
	v_fmac_f16_e32 v164, 0x2de8, v7
	v_add_f16_e32 v139, v139, v148
	v_fma_f16 v130, v87, 0x39e9, -v130
	v_add_f16_e32 v133, v133, v140
	v_fmac_f16_e32 v135, 0x3722, v29
	v_add_f16_e32 v110, v112, v110
	v_fma_f16 v114, v97, 0xbacd, -v114
	v_add_f16_e32 v116, v118, v116
	v_fmac_f16_e32 v120, 0xb461, v7
	v_add_f16_e32 v159, v164, v159
	v_fmac_f16_e32 v166, 0xb8d2, v29
	v_add_f16_e32 v130, v130, v139
	v_fma_f16 v139, v89, 0x3722, -v141
	v_add_f16_e32 v133, v135, v133
	v_fmac_f16_e32 v138, 0xbbdd, v4
	v_add_f16_e32 v110, v114, v110
	v_add_f16_e32 v114, v120, v116
	v_fmac_f16_e32 v122, 0x3b76, v29
	v_add_f16_e32 v159, v166, v159
	v_fmac_f16_e32 v168, 0x3b76, v4
	v_add_f16_e32 v139, v139, v130
	v_fma_f16 v142, v96, 0xbbdd, -v143
	v_add_f16_e32 v111, v138, v133
	v_fmac_f16_e32 v144, 0x2de8, v31
	v_fma_f16 v115, v91, 0xb8d2, -v115
	v_add_f16_e32 v114, v122, v114
	v_fmac_f16_e32 v123, 0x3722, v4
	v_add_f16_e32 v147, v168, v159
	v_fmac_f16_e32 v170, 0xbbdd, v31
	v_fmac_f16_e32 v150, 0x3b76, v7
	v_add_f16_e32 v139, v142, v139
	v_fma_f16 v132, v97, 0x2de8, -v132
	v_add_f16_e32 v111, v144, v111
	v_fmac_f16_e32 v136, 0x3b76, v32
	v_add_f16_e32 v110, v115, v110
	v_add_f16_e32 v114, v123, v114
	v_fmac_f16_e32 v124, 0xbacd, v31
	v_fma_f16 v121, v104, 0x39e9, -v121
	v_add_f16_e32 v147, v170, v147
	v_fmac_f16_e32 v172, 0x39e9, v32
	v_add_f16_e32 v146, v150, v146
	v_fmac_f16_e32 v152, 0xbacd, v29
	v_add_f16_e32 v132, v132, v139
	v_fma_f16 v134, v91, 0x3b76, -v134
	v_add_f16_e32 v111, v136, v111
	v_fmac_f16_e32 v131, 0xb8d2, v33
	v_add_f16_e32 v114, v124, v114
	v_fmac_f16_e32 v127, 0xb8d2, v32
	v_add_f16_e32 v110, v121, v110
	v_mul_f16_e32 v121, 0xbb29, v99
	v_add_f16_e32 v147, v172, v147
	v_fmac_f16_e32 v174, 0xb461, v33
	v_add_f16_e32 v146, v152, v146
	v_fmac_f16_e32 v154, 0x2de8, v4
	v_add_f16_e32 v132, v134, v132
	v_fma_f16 v133, v104, 0xb8d2, -v137
	v_add_f16_e32 v111, v131, v111
	v_add_f16_e32 v114, v127, v114
	v_fmac_f16_e32 v125, 0x39e9, v33
	v_fmamk_f16 v127, v5, 0x3722, v121
	v_mul_f16_e32 v131, 0xba62, v94
	v_add_f16_e32 v128, v174, v147
	v_fma_f16 v147, v104, 0x3722, -v155
	v_add_f16_e32 v146, v154, v146
	v_fmac_f16_e32 v156, 0x39e9, v31
	v_add_f16_e32 v108, v133, v132
	v_mul_f16_e32 v112, 0x3722, v82
	v_add_f16_e32 v114, v125, v114
	v_add_f16_e32 v125, v27, v127
	v_fmamk_f16 v127, v6, 0xb8d2, v131
	v_mul_f16_e32 v132, 0x31e1, v95
	v_add_f16_e32 v129, v147, v145
	v_add_f16_e32 v145, v156, v146
	v_fmac_f16_e32 v157, 0xbbdd, v32
	v_fmamk_f16 v118, v15, 0x3b29, v112
	v_mul_f16_e32 v126, 0xb8d2, v84
	v_add_f16_e32 v125, v127, v125
	v_fmamk_f16 v127, v7, 0xbbdd, v132
	v_mul_f16_e32 v134, 0x3bb2, v98
	v_add_f16_e32 v141, v157, v145
	v_fmac_f16_e32 v158, 0x3722, v33
	v_add_f16_sdwa v116, v27, v118 dst_sel:DWORD dst_unused:UNUSED_PAD src0_sel:WORD_1 src1_sel:DWORD
	v_fmamk_f16 v118, v8, 0x3a62, v126
	v_mul_f16_e32 v120, 0xbbdd, v87
	v_add_f16_e32 v125, v127, v125
	v_fmamk_f16 v127, v29, 0xb461, v134
	v_mul_f16_e32 v138, 0x3964, v100
	v_add_f16_e32 v130, v158, v141
	v_add_f16_e32 v116, v118, v116
	v_fmamk_f16 v118, v9, 0xb1e1, v120
	v_mul_f16_e32 v122, 0xb461, v89
	v_add_f16_e32 v125, v127, v125
	v_fmamk_f16 v127, v4, 0x39e9, v138
	v_mul_f16_e32 v141, 0xb5c8, v101
	;; [unrolled: 3-line block ×5, first 2 shown]
	v_mul_f16_e32 v133, 0x39e9, v82
	v_add_f16_e32 v125, v127, v125
	v_fmamk_f16 v127, v32, 0x2de8, v143
	v_add_f16_e32 v115, v116, v115
	v_fmamk_f16 v116, v0, 0x35c8, v123
	v_mul_f16_e32 v124, 0x2de8, v91
	v_fmamk_f16 v136, v15, 0x3964, v133
	v_mul_f16_e32 v137, 0x2de8, v84
	v_add_f16_e32 v125, v127, v125
	v_mul_f16_e32 v127, 0xb836, v103
	v_mul_f16_e32 v145, 0xb964, v99
	v_add_f16_e32 v115, v116, v115
	v_fmamk_f16 v116, v1, 0x3bf7, v124
	v_add_f16_sdwa v136, v27, v136 dst_sel:DWORD dst_unused:UNUSED_PAD src0_sel:WORD_1 src1_sel:DWORD
	v_fmamk_f16 v139, v8, 0x3bf7, v137
	v_mul_f16_e32 v140, 0xb8d2, v87
	v_fmamk_f16 v147, v33, 0xbacd, v127
	v_fmamk_f16 v148, v5, 0x39e9, v145
	v_mul_f16_e32 v149, 0xbbf7, v94
	v_add_f16_e32 v115, v116, v115
	v_mul_f16_e32 v116, 0xbacd, v104
	v_add_f16_e32 v136, v139, v136
	v_fmamk_f16 v139, v9, 0x3a62, v140
	v_mul_f16_e32 v142, 0xbbdd, v89
	v_add_f16_e32 v125, v147, v125
	v_add_f16_e32 v147, v27, v148
	v_fmamk_f16 v148, v6, 0x2de8, v149
	v_mul_f16_e32 v150, 0xba62, v95
	v_mul_f16_e32 v82, 0x3b76, v82
	v_add_f16_e32 v41, v27, v41
	v_fmamk_f16 v135, v2, 0x3836, v116
	v_add_f16_e32 v136, v139, v136
	v_fmamk_f16 v139, v10, 0x31e1, v142
	v_mul_f16_e32 v144, 0xbacd, v96
	v_add_f16_e32 v147, v148, v147
	v_fmamk_f16 v148, v7, 0xb8d2, v150
	v_mul_f16_e32 v151, 0xb1e1, v98
	v_fmamk_f16 v153, v15, 0x35c8, v82
	v_mul_f16_e32 v84, 0x39e9, v84
	v_add_f16_e32 v41, v61, v41
	v_add_f16_e32 v115, v135, v115
	;; [unrolled: 1-line block ×3, first 2 shown]
	v_fmamk_f16 v136, v11, 0xb836, v144
	v_mul_f16_e32 v139, 0xb461, v97
	v_add_f16_e32 v147, v148, v147
	v_fmamk_f16 v148, v29, 0xbbdd, v151
	v_mul_f16_e32 v154, 0x3836, v100
	v_add_f16_sdwa v153, v27, v153 dst_sel:DWORD dst_unused:UNUSED_PAD src0_sel:WORD_1 src1_sel:DWORD
	v_fmamk_f16 v155, v8, 0x3964, v84
	v_mul_f16_e32 v87, 0x3722, v87
	v_add_f16_e32 v41, v69, v41
	v_add_f16_sdwa v59, v59, v27 dst_sel:DWORD dst_unused:UNUSED_PAD src0_sel:DWORD src1_sel:WORD_1
	v_add_f16_e32 v171, v173, v171
	v_fma_f16 v173, v89, 0x39e9, -v178
	v_add_f16_e32 v135, v136, v135
	v_fmamk_f16 v136, v0, 0xbbb2, v139
	v_mul_f16_e32 v146, 0x3722, v91
	v_add_f16_e32 v147, v148, v147
	v_fmamk_f16 v148, v4, 0xbacd, v154
	v_mul_f16_e32 v156, 0x3bb2, v101
	;; [unrolled: 3-line block ×3, first 2 shown]
	v_mul_f16_e32 v99, 0xb5c8, v99
	v_add_f16_e32 v41, v70, v41
	v_add_f16_e32 v59, v60, v59
	;; [unrolled: 1-line block ×3, first 2 shown]
	v_fma_f16 v173, v96, 0xb8d2, -v180
	v_add_f16_e32 v135, v136, v135
	v_fmamk_f16 v136, v1, 0xbb29, v146
	v_add_f16_e32 v147, v148, v147
	v_fmamk_f16 v148, v31, 0xb461, v156
	v_mul_f16_e32 v157, 0x3b29, v102
	v_add_f16_e32 v153, v155, v153
	v_fmamk_f16 v155, v10, 0x3bf7, v89
	v_mul_f16_e32 v96, 0xb461, v96
	v_fmamk_f16 v69, v5, 0x3b76, v99
	v_mul_f16_e32 v94, 0xb964, v94
	v_add_f16_e32 v41, v74, v41
	v_add_f16_e32 v40, v40, v59
	v_add_f16_e32 v171, v173, v171
	v_fma_f16 v173, v97, 0x3722, -v183
	v_fma_f16 v163, v97, 0xbbdd, -v165
	v_add_f16_e32 v135, v136, v135
	v_mul_f16_e32 v136, 0x3b76, v104
	v_add_f16_e32 v147, v148, v147
	v_fmamk_f16 v148, v32, 0x3722, v157
	v_mul_f16_e32 v158, 0x35c8, v103
	v_add_f16_e32 v153, v155, v153
	v_fmamk_f16 v155, v11, 0x3bb2, v96
	;; [unrolled: 3-line block ×3, first 2 shown]
	v_mul_f16_e32 v70, 0xbb29, v95
	v_add_f16_e32 v41, v77, v41
	v_add_f16_e32 v40, v71, v40
	;; [unrolled: 1-line block ×3, first 2 shown]
	v_fma_f16 v173, v91, 0xb461, -v185
	v_add_f16_e32 v160, v163, v161
	v_fma_f16 v161, v91, 0x39e9, -v167
	v_fmamk_f16 v152, v2, 0xb5c8, v136
	v_add_f16_e32 v147, v148, v147
	v_fmamk_f16 v148, v33, 0x3b76, v158
	v_add_f16_e32 v153, v155, v153
	v_fmamk_f16 v155, v0, 0x3a62, v97
	v_mul_f16_e32 v91, 0xbacd, v91
	v_add_f16_e32 v60, v69, v60
	v_fmamk_f16 v69, v7, 0x3722, v70
	v_mul_f16_e32 v71, 0xbbf7, v98
	v_add_f16_e32 v41, v81, v41
	v_add_f16_e32 v40, v75, v40
	;; [unrolled: 1-line block ×5, first 2 shown]
	v_fmamk_f16 v59, v1, 0x3836, v91
	v_add_f16_e32 v60, v69, v60
	v_fmamk_f16 v69, v29, 0x2de8, v71
	v_mul_f16_e32 v74, 0xbbb2, v100
	v_mul_f16_e32 v75, 0xbbdd, v104
	v_add_f16_e32 v41, v88, v41
	v_add_f16_e32 v40, v79, v40
	;; [unrolled: 1-line block ×4, first 2 shown]
	v_fmamk_f16 v69, v4, 0xb461, v74
	v_mul_f16_e32 v77, 0xba62, v101
	v_add_f16_e32 v41, v86, v41
	v_add_f16_e32 v40, v83, v40
	v_fmamk_f16 v79, v2, 0x31e1, v75
	v_add_f16_e32 v60, v69, v60
	v_fmamk_f16 v69, v31, 0xb8d2, v77
	v_add_f16_e32 v41, v80, v41
	v_add_f16_e32 v40, v93, v40
	v_add_f16_e32 v59, v79, v59
	v_mul_f16_e32 v79, 0xb836, v102
	v_add_f16_e32 v60, v69, v60
	v_add_f16_e32 v41, v73, v41
	;; [unrolled: 1-line block ×3, first 2 shown]
	v_fmac_f16_e32 v112, 0xbb29, v15
	v_fmamk_f16 v69, v32, 0xbacd, v79
	v_mul_f16_e32 v73, 0xb1e1, v103
	v_add_f16_e32 v38, v38, v41
	v_add_f16_e32 v40, v78, v40
	v_add_f16_sdwa v41, v27, v112 dst_sel:DWORD dst_unused:UNUSED_PAD src0_sel:WORD_1 src1_sel:DWORD
	v_fmac_f16_e32 v126, 0xba62, v8
	v_add_f16_e32 v60, v69, v60
	v_fmamk_f16 v69, v33, 0xbbdd, v73
	v_add_f16_e32 v38, v39, v38
	v_add_f16_e32 v39, v72, v40
	v_add_f16_e32 v40, v126, v41
	v_fmac_f16_e32 v120, 0x31e1, v9
	v_add_f16_e32 v41, v69, v60
	v_fma_f16 v60, v5, 0x3722, -v121
	v_add_f16_e32 v35, v35, v38
	v_add_f16_e32 v37, v37, v39
	v_add_f16_e32 v38, v120, v40
	v_fmac_f16_e32 v122, 0x3bb2, v10
	v_add_f16_e32 v39, v27, v60
	v_fma_f16 v40, v6, 0xb8d2, -v131
	;; [unrolled: 6-line block ×3, first 2 shown]
	v_add_f16_e32 v30, v30, v34
	v_add_f16_e32 v12, v13, v12
	;; [unrolled: 1-line block ×3, first 2 shown]
	v_fma_f16 v35, v29, 0xb461, -v134
	v_add_f16_e32 v34, v38, v37
	v_fmac_f16_e32 v133, 0xb964, v15
	v_add_f16_e32 v12, v14, v12
	v_fmac_f16_e32 v137, 0xbbf7, v8
	v_fmac_f16_e32 v140, 0xba62, v9
	v_add_f16_e32 v14, v35, v34
	v_fma_f16 v34, v4, 0x39e9, -v138
	v_add_f16_sdwa v35, v27, v133 dst_sel:DWORD dst_unused:UNUSED_PAD src0_sel:WORD_1 src1_sel:DWORD
	v_add_f16_e32 v12, v28, v12
	v_fma_f16 v28, v31, 0x3b76, -v141
	v_fmac_f16_e32 v142, 0xb1e1, v10
	v_add_f16_e32 v14, v34, v14
	v_add_f16_e32 v34, v137, v35
	v_fma_f16 v35, v5, 0x39e9, -v145
	v_fma_f16 v37, v6, 0x2de8, -v149
	v_fmac_f16_e32 v144, 0x3836, v11
	v_add_f16_e32 v14, v28, v14
	v_fma_f16 v28, v32, 0x2de8, -v143
	v_add_f16_e32 v34, v140, v34
	v_add_f16_e32 v35, v27, v35
	v_fmac_f16_e32 v82, 0xb5c8, v15
	v_fma_f16 v5, v5, 0x3b76, -v99
	v_add_f16_e32 v14, v28, v14
	v_add_f16_e32 v28, v142, v34
	;; [unrolled: 1-line block ×3, first 2 shown]
	v_fma_f16 v35, v7, 0xb8d2, -v150
	v_fma_f16 v37, v33, 0xbacd, -v127
	v_fmac_f16_e32 v139, 0x3bb2, v0
	v_add_f16_e32 v15, v144, v28
	v_fmac_f16_e32 v84, 0xb964, v8
	v_add_f16_e32 v28, v35, v34
	v_fma_f16 v34, v29, 0xbbdd, -v151
	v_add_f16_sdwa v35, v27, v82 dst_sel:DWORD dst_unused:UNUSED_PAD src0_sel:WORD_1 src1_sel:DWORD
	v_add_f16_e32 v5, v27, v5
	v_fma_f16 v6, v6, 0x39e9, -v94
	v_add_f16_e32 v8, v37, v14
	v_add_f16_e32 v14, v139, v15
	;; [unrolled: 1-line block ×4, first 2 shown]
	v_fmac_f16_e32 v87, 0xbb29, v9
	v_add_f16_e32 v5, v6, v5
	v_fma_f16 v6, v7, 0x3722, -v70
	v_fma_f16 v9, v4, 0xbacd, -v154
	v_fmac_f16_e32 v89, 0xbbf7, v10
	v_add_f16_e32 v27, v87, v28
	v_fma_f16 v7, v31, 0xb461, -v156
	v_add_f16_e32 v5, v6, v5
	v_fma_f16 v6, v29, 0x2de8, -v71
	v_add_f16_e32 v9, v9, v15
	v_add_f16_e32 v10, v89, v27
	v_fmac_f16_e32 v96, 0xbbb2, v11
	v_fma_f16 v4, v4, 0xb461, -v74
	v_add_f16_e32 v5, v6, v5
	v_fmac_f16_e32 v123, 0xb5c8, v0
	v_add_f16_e32 v7, v7, v9
	v_add_f16_e32 v9, v96, v10
	v_fmac_f16_e32 v97, 0xba62, v0
	v_fma_f16 v0, v32, 0x3722, -v157
	v_fmac_f16_e32 v124, 0xbbf7, v1
	v_fmac_f16_e32 v146, 0x3b29, v1
	;; [unrolled: 1-line block ×3, first 2 shown]
	v_add_f16_e32 v1, v4, v5
	v_fma_f16 v4, v31, 0xb8d2, -v77
	v_add_f16_e32 v6, v97, v9
	v_add_f16_e32 v0, v0, v7
	v_mov_b32_e32 v7, 51
	v_add_f16_e32 v160, v161, v160
	v_fma_f16 v161, v104, 0xb461, -v169
	v_add_f16_e32 v13, v123, v13
	v_fmac_f16_e32 v116, 0xb836, v2
	v_fmac_f16_e32 v136, 0x35c8, v2
	;; [unrolled: 1-line block ×3, first 2 shown]
	v_add_f16_e32 v1, v4, v1
	v_fma_f16 v2, v32, 0xbacd, -v79
	v_add_f16_e32 v171, v173, v171
	v_fma_f16 v173, v104, 0x2de8, -v187
	v_fma_f16 v5, v33, 0x3b76, -v158
	v_add_f16_e32 v6, v91, v6
	v_mul_u32_u24_sdwa v7, v58, v7 dst_sel:DWORD dst_unused:UNUSED_PAD src0_sel:WORD_0 src1_sel:DWORD
	v_add_f16_e32 v11, v146, v14
	v_add_f16_e32 v119, v161, v160
	;; [unrolled: 1-line block ×4, first 2 shown]
	v_fma_f16 v2, v33, 0xbbdd, -v73
	v_add_f16_e32 v113, v173, v171
	v_add_f16_e32 v0, v5, v0
	;; [unrolled: 1-line block ×3, first 2 shown]
	v_add_lshl_u32 v6, v7, v57, 2
	v_pack_b32_f16 v7, v30, v12
	v_pack_b32_f16 v9, v41, v59
	v_add_f16_e32 v4, v136, v11
	v_pack_b32_f16 v10, v135, v61
	v_pack_b32_f16 v11, v125, v115
	;; [unrolled: 1-line block ×4, first 2 shown]
	v_add_f16_e32 v13, v116, v13
	v_pack_b32_f16 v15, v130, v129
	v_pack_b32_f16 v27, v128, v119
	v_add_f16_e32 v1, v2, v1
	ds_write2_b32 v6, v7, v9 offset1:3
	ds_write2_b32 v6, v10, v11 offset0:6 offset1:9
	ds_write2_b32 v6, v12, v14 offset0:12 offset1:15
	;; [unrolled: 1-line block ×3, first 2 shown]
	v_pack_b32_f16 v2, v117, v113
	v_pack_b32_f16 v7, v109, v107
	v_pack_b32_f16 v9, v106, v105
	v_pack_b32_f16 v10, v92, v85
	v_pack_b32_f16 v11, v76, v42
	v_pack_b32_f16 v3, v36, v3
	v_pack_b32_f16 v8, v8, v13
	v_pack_b32_f16 v0, v0, v4
	v_pack_b32_f16 v1, v1, v5
	ds_write2_b32 v6, v2, v7 offset0:24 offset1:27
	ds_write2_b32 v6, v9, v10 offset0:30 offset1:33
	ds_write2_b32 v6, v11, v3 offset0:36 offset1:39
	ds_write2_b32 v6, v8, v0 offset0:42 offset1:45
	ds_write_b32 v6, v1 offset:192
.LBB0_21:
	s_or_b32 exec_lo, exec_lo, s1
	s_waitcnt lgkmcnt(0)
	s_barrier
	buffer_gl0_inv
	ds_read2_b32 v[0:1], v43 offset0:102 offset1:153
	ds_read2_b32 v[3:4], v43 offset0:204 offset1:255
	v_add_nc_u32_e32 v6, 0x400, v43
	v_add_nc_u32_e32 v2, 0x600, v43
	;; [unrolled: 1-line block ×3, first 2 shown]
	ds_read2_b32 v[7:8], v6 offset0:50 offset1:101
	ds_read2_b32 v[9:10], v6 offset0:152 offset1:203
	;; [unrolled: 1-line block ×4, first 2 shown]
	ds_read2_b32 v[27:28], v43 offset1:51
	s_waitcnt lgkmcnt(0)
	s_barrier
	buffer_gl0_inv
	s_mov_b32 s4, 0x16f26017
	s_mov_b32 s5, 0x3f56f260
	v_lshrrev_b32_e32 v15, 16, v0
	v_lshrrev_b32_e32 v29, 16, v3
	v_mul_f16_sdwa v32, v16, v0 dst_sel:DWORD dst_unused:UNUSED_PAD src0_sel:WORD_1 src1_sel:DWORD
	v_mul_f16_sdwa v33, v17, v3 dst_sel:DWORD dst_unused:UNUSED_PAD src0_sel:WORD_1 src1_sel:DWORD
	v_lshrrev_b32_e32 v34, 16, v7
	v_lshrrev_b32_e32 v35, 16, v9
	;; [unrolled: 1-line block ×3, first 2 shown]
	v_mul_f16_sdwa v40, v16, v15 dst_sel:DWORD dst_unused:UNUSED_PAD src0_sel:WORD_1 src1_sel:DWORD
	v_mul_f16_sdwa v41, v17, v29 dst_sel:DWORD dst_unused:UNUSED_PAD src0_sel:WORD_1 src1_sel:DWORD
	v_lshrrev_b32_e32 v30, 16, v1
	v_lshrrev_b32_e32 v37, 16, v13
	v_fma_f16 v15, v16, v15, -v32
	v_fmac_f16_e32 v40, v16, v0
	v_fmac_f16_e32 v41, v17, v3
	v_fma_f16 v0, v17, v29, -v33
	v_mul_f16_sdwa v3, v18, v34 dst_sel:DWORD dst_unused:UNUSED_PAD src0_sel:WORD_1 src1_sel:DWORD
	v_mul_f16_sdwa v29, v18, v7 dst_sel:DWORD dst_unused:UNUSED_PAD src0_sel:WORD_1 src1_sel:DWORD
	;; [unrolled: 1-line block ×5, first 2 shown]
	v_lshrrev_b32_e32 v31, 16, v4
	v_lshrrev_b32_e32 v38, 16, v8
	;; [unrolled: 1-line block ×3, first 2 shown]
	v_fmac_f16_e32 v3, v18, v7
	v_fma_f16 v7, v18, v34, -v29
	v_fmac_f16_e32 v32, v19, v9
	v_fma_f16 v9, v19, v35, -v33
	v_fmac_f16_e32 v58, v25, v11
	v_mul_f16_sdwa v11, v25, v11 dst_sel:DWORD dst_unused:UNUSED_PAD src0_sel:WORD_1 src1_sel:DWORD
	v_mul_f16_sdwa v29, v26, v37 dst_sel:DWORD dst_unused:UNUSED_PAD src0_sel:WORD_1 src1_sel:DWORD
	;; [unrolled: 1-line block ×5, first 2 shown]
	v_lshrrev_b32_e32 v42, 16, v12
	v_lshrrev_b32_e32 v57, 16, v14
	v_fma_f16 v11, v25, v36, -v11
	v_fmac_f16_e32 v29, v26, v13
	v_fma_f16 v13, v26, v37, -v33
	v_fmac_f16_e32 v34, v16, v1
	v_fma_f16 v1, v16, v30, -v35
	v_mul_f16_sdwa v16, v17, v31 dst_sel:DWORD dst_unused:UNUSED_PAD src0_sel:WORD_1 src1_sel:DWORD
	v_mul_f16_sdwa v30, v17, v4 dst_sel:DWORD dst_unused:UNUSED_PAD src0_sel:WORD_1 src1_sel:DWORD
	;; [unrolled: 1-line block ×5, first 2 shown]
	v_fmac_f16_e32 v16, v17, v4
	v_fma_f16 v4, v17, v31, -v30
	v_fmac_f16_e32 v33, v18, v8
	v_fma_f16 v8, v18, v38, -v35
	v_fmac_f16_e32 v36, v19, v10
	v_mul_f16_sdwa v10, v19, v10 dst_sel:DWORD dst_unused:UNUSED_PAD src0_sel:WORD_1 src1_sel:DWORD
	v_mul_f16_sdwa v17, v25, v42 dst_sel:DWORD dst_unused:UNUSED_PAD src0_sel:WORD_1 src1_sel:DWORD
	;; [unrolled: 1-line block ×5, first 2 shown]
	v_fma_f16 v10, v19, v39, -v10
	v_fmac_f16_e32 v17, v25, v12
	v_fma_f16 v12, v25, v42, -v18
	v_fmac_f16_e32 v30, v26, v14
	v_fma_f16 v14, v26, v57, -v31
	v_add_f16_e32 v18, v40, v29
	v_add_f16_e32 v19, v15, v13
	v_sub_f16_e32 v13, v15, v13
	v_add_f16_e32 v15, v41, v58
	v_add_f16_e32 v26, v0, v11
	v_sub_f16_e32 v25, v40, v29
	v_sub_f16_e32 v29, v41, v58
	;; [unrolled: 1-line block ×3, first 2 shown]
	v_add_f16_e32 v11, v3, v32
	v_add_f16_e32 v31, v7, v9
	v_sub_f16_e32 v3, v32, v3
	v_sub_f16_e32 v7, v9, v7
	v_add_f16_e32 v9, v15, v18
	v_add_f16_e32 v32, v26, v19
	v_sub_f16_e32 v35, v15, v18
	v_sub_f16_e32 v37, v26, v19
	;; [unrolled: 1-line block ×6, first 2 shown]
	v_add_f16_e32 v38, v3, v29
	v_add_f16_e32 v39, v7, v0
	v_sub_f16_e32 v40, v3, v29
	v_sub_f16_e32 v41, v7, v0
	;; [unrolled: 1-line block ×3, first 2 shown]
	v_add_f16_e32 v9, v11, v9
	v_add_f16_e32 v11, v31, v32
	v_sub_f16_e32 v0, v0, v13
	v_sub_f16_e32 v3, v25, v3
	;; [unrolled: 1-line block ×3, first 2 shown]
	v_add_f16_e32 v25, v38, v25
	v_add_f16_e32 v13, v39, v13
	;; [unrolled: 1-line block ×3, first 2 shown]
	v_add_f16_sdwa v27, v27, v11 dst_sel:DWORD dst_unused:UNUSED_PAD src0_sel:WORD_1 src1_sel:DWORD
	v_mul_f16_e32 v18, 0x3a52, v18
	v_mul_f16_e32 v19, 0x3a52, v19
	;; [unrolled: 1-line block ×8, first 2 shown]
	v_fmamk_f16 v9, v9, 0xbcab, v31
	v_fmamk_f16 v11, v11, 0xbcab, v27
	;; [unrolled: 1-line block ×4, first 2 shown]
	v_fma_f16 v32, v35, 0x39e0, -v32
	v_fma_f16 v38, v37, 0x39e0, -v38
	;; [unrolled: 1-line block ×4, first 2 shown]
	v_fmamk_f16 v35, v3, 0xb574, v39
	v_fmamk_f16 v37, v7, 0xb574, v40
	v_fma_f16 v0, v0, 0xbb00, -v40
	v_fma_f16 v3, v3, 0x3574, -v41
	;; [unrolled: 1-line block ×4, first 2 shown]
	v_add_f16_e32 v15, v15, v9
	v_add_f16_e32 v26, v26, v11
	;; [unrolled: 1-line block ×6, first 2 shown]
	v_fmac_f16_e32 v35, 0xb70e, v25
	v_fmac_f16_e32 v37, 0xb70e, v13
	;; [unrolled: 1-line block ×6, first 2 shown]
	v_add_f16_e32 v13, v37, v15
	v_sub_f16_e32 v18, v26, v35
	v_add_f16_e32 v19, v7, v9
	v_sub_f16_e32 v25, v11, v3
	v_sub_f16_e32 v39, v32, v0
	v_add_f16_e32 v0, v0, v32
	v_sub_f16_e32 v7, v9, v7
	v_add_f16_e32 v3, v3, v11
	;; [unrolled: 2-line block ×3, first 2 shown]
	v_add_f16_e32 v15, v34, v30
	v_add_f16_e32 v26, v1, v14
	v_sub_f16_e32 v1, v1, v14
	v_add_f16_e32 v14, v16, v17
	v_add_f16_e32 v32, v4, v12
	v_sub_f16_e32 v30, v34, v30
	v_sub_f16_e32 v16, v16, v17
	;; [unrolled: 1-line block ×3, first 2 shown]
	v_add_f16_e32 v12, v33, v36
	v_add_f16_e32 v17, v8, v10
	v_sub_f16_e32 v33, v36, v33
	v_sub_f16_e32 v8, v10, v8
	v_add_f16_e32 v10, v14, v15
	v_add_f16_e32 v34, v32, v26
	;; [unrolled: 1-line block ×3, first 2 shown]
	v_sub_f16_e32 v29, v38, v29
	v_sub_f16_e32 v35, v14, v15
	;; [unrolled: 1-line block ×7, first 2 shown]
	v_add_f16_e32 v37, v33, v16
	v_add_f16_e32 v38, v8, v4
	v_sub_f16_e32 v41, v33, v16
	v_sub_f16_e32 v42, v8, v4
	;; [unrolled: 1-line block ×3, first 2 shown]
	v_add_f16_e32 v10, v12, v10
	v_add_f16_e32 v12, v17, v34
	v_sub_f16_e32 v4, v4, v1
	v_sub_f16_e32 v33, v30, v33
	;; [unrolled: 1-line block ×3, first 2 shown]
	v_add_f16_e32 v17, v37, v30
	v_add_f16_e32 v1, v38, v1
	;; [unrolled: 1-line block ×3, first 2 shown]
	v_add_f16_sdwa v28, v28, v12 dst_sel:DWORD dst_unused:UNUSED_PAD src0_sel:WORD_1 src1_sel:DWORD
	v_mul_f16_e32 v15, 0x3a52, v15
	v_mul_f16_e32 v26, 0x3a52, v26
	v_mul_f16_e32 v34, 0x2b26, v14
	v_mul_f16_e32 v37, 0x2b26, v32
	v_mul_f16_e32 v38, 0x3846, v41
	v_mul_f16_e32 v41, 0x3846, v42
	v_mul_f16_e32 v42, 0xbb00, v16
	v_mul_f16_e32 v57, 0xbb00, v4
	v_fmamk_f16 v10, v10, 0xbcab, v30
	v_fmamk_f16 v12, v12, 0xbcab, v28
	v_fmamk_f16 v14, v14, 0x2b26, v15
	v_fmamk_f16 v32, v32, 0x2b26, v26
	v_fma_f16 v34, v35, 0x39e0, -v34
	v_fma_f16 v37, v36, 0x39e0, -v37
	;; [unrolled: 1-line block ×4, first 2 shown]
	v_fmamk_f16 v35, v33, 0xb574, v38
	v_fmamk_f16 v36, v8, 0xb574, v41
	v_fma_f16 v33, v33, 0x3574, -v42
	v_fma_f16 v8, v8, 0x3574, -v57
	;; [unrolled: 1-line block ×4, first 2 shown]
	v_add_f16_e32 v14, v14, v10
	v_add_f16_e32 v32, v32, v12
	;; [unrolled: 1-line block ×6, first 2 shown]
	v_fmac_f16_e32 v35, 0xb70e, v17
	v_fmac_f16_e32 v36, 0xb70e, v1
	;; [unrolled: 1-line block ×6, first 2 shown]
	v_add_f16_e32 v1, v36, v14
	v_sub_f16_e32 v15, v32, v35
	v_add_f16_e32 v17, v8, v10
	v_sub_f16_e32 v26, v12, v33
	v_sub_f16_e32 v38, v34, v4
	v_add_f16_e32 v41, v16, v37
	v_add_f16_e32 v4, v4, v34
	v_sub_f16_e32 v16, v37, v16
	v_pack_b32_f16 v27, v31, v27
	v_pack_b32_f16 v13, v13, v18
	v_sub_f16_e32 v8, v10, v8
	v_add_f16_e32 v10, v33, v12
	v_sub_f16_e32 v12, v14, v36
	v_add_f16_e32 v14, v35, v32
	v_pack_b32_f16 v18, v19, v25
	v_pack_b32_f16 v19, v39, v40
	;; [unrolled: 1-line block ×8, first 2 shown]
	ds_write2_b32 v43, v27, v13 offset1:51
	ds_write2_b32 v43, v18, v19 offset0:102 offset1:153
	v_pack_b32_f16 v13, v38, v41
	v_pack_b32_f16 v4, v4, v16
	;; [unrolled: 1-line block ×4, first 2 shown]
	ds_write2_b32 v43, v0, v3 offset0:204 offset1:255
	ds_write2_b32 v6, v7, v9 offset0:50 offset1:101
	;; [unrolled: 1-line block ×5, first 2 shown]
	s_waitcnt lgkmcnt(0)
	s_barrier
	buffer_gl0_inv
	ds_read2_b32 v[0:1], v43 offset1:51
	ds_read2_b32 v[3:4], v6 offset0:50 offset1:101
	ds_read2_b32 v[7:8], v6 offset0:152 offset1:203
	;; [unrolled: 1-line block ×6, first 2 shown]
	s_waitcnt lgkmcnt(6)
	v_lshrrev_b32_e32 v17, 16, v0
	s_waitcnt lgkmcnt(5)
	v_lshrrev_b32_e32 v18, 16, v4
	;; [unrolled: 2-line block ×3, first 2 shown]
	v_lshrrev_b32_e32 v27, 16, v8
	s_waitcnt lgkmcnt(2)
	v_lshrrev_b32_e32 v29, 16, v11
	v_mul_f16_sdwa v35, v65, v4 dst_sel:DWORD dst_unused:UNUSED_PAD src0_sel:WORD_1 src1_sel:DWORD
	v_mul_f16_sdwa v33, v65, v18 dst_sel:DWORD dst_unused:UNUSED_PAD src0_sel:WORD_1 src1_sel:DWORD
	;; [unrolled: 1-line block ×4, first 2 shown]
	v_lshrrev_b32_e32 v31, 16, v12
	s_waitcnt lgkmcnt(0)
	v_lshrrev_b32_e32 v34, 16, v15
	v_fmac_f16_e32 v33, v65, v4
	v_mul_f16_sdwa v4, v62, v25 dst_sel:DWORD dst_unused:UNUSED_PAD src0_sel:WORD_1 src1_sel:DWORD
	v_fma_f16 v18, v65, v18, -v35
	v_mul_f16_sdwa v35, v62, v7 dst_sel:DWORD dst_unused:UNUSED_PAD src0_sel:WORD_1 src1_sel:DWORD
	v_fmac_f16_e32 v38, v68, v8
	v_fma_f16 v8, v68, v27, -v39
	v_fmac_f16_e32 v4, v62, v7
	v_mul_f16_sdwa v7, v66, v29 dst_sel:DWORD dst_unused:UNUSED_PAD src0_sel:WORD_1 src1_sel:DWORD
	v_mul_f16_sdwa v27, v66, v11 dst_sel:DWORD dst_unused:UNUSED_PAD src0_sel:WORD_1 src1_sel:DWORD
	v_lshrrev_b32_e32 v37, 16, v16
	v_fma_f16 v25, v62, v25, -v35
	v_mul_f16_sdwa v35, v64, v12 dst_sel:DWORD dst_unused:UNUSED_PAD src0_sel:WORD_1 src1_sel:DWORD
	v_fmac_f16_e32 v7, v66, v11
	v_mul_f16_sdwa v11, v64, v31 dst_sel:DWORD dst_unused:UNUSED_PAD src0_sel:WORD_1 src1_sel:DWORD
	v_mul_f16_sdwa v39, v67, v34 dst_sel:DWORD dst_unused:UNUSED_PAD src0_sel:WORD_1 src1_sel:DWORD
	v_lshrrev_b32_e32 v19, 16, v1
	v_fma_f16 v27, v66, v29, -v27
	v_mul_f16_sdwa v29, v67, v15 dst_sel:DWORD dst_unused:UNUSED_PAD src0_sel:WORD_1 src1_sel:DWORD
	v_fmac_f16_e32 v11, v64, v12
	v_fma_f16 v12, v64, v31, -v35
	v_fmac_f16_e32 v39, v67, v15
	v_mul_f16_sdwa v15, v63, v37 dst_sel:DWORD dst_unused:UNUSED_PAD src0_sel:WORD_1 src1_sel:DWORD
	v_mul_f16_sdwa v31, v63, v16 dst_sel:DWORD dst_unused:UNUSED_PAD src0_sel:WORD_1 src1_sel:DWORD
	v_lshrrev_b32_e32 v26, 16, v9
	v_lshrrev_b32_e32 v28, 16, v10
	v_sub_f16_e32 v33, v0, v33
	v_sub_f16_e32 v18, v17, v18
	;; [unrolled: 1-line block ×4, first 2 shown]
	v_lshrrev_b32_e32 v30, 16, v13
	v_lshrrev_b32_e32 v32, 16, v14
	v_fma_f16 v29, v67, v34, -v29
	v_lshrrev_b32_e32 v36, 16, v3
	v_fmac_f16_e32 v15, v63, v16
	v_fma_f16 v16, v63, v37, -v31
	v_fma_f16 v0, v0, 2.0, -v33
	v_fma_f16 v17, v17, 2.0, -v18
	v_sub_f16_e32 v31, v9, v38
	v_sub_f16_e32 v8, v26, v8
	;; [unrolled: 1-line block ×4, first 2 shown]
	v_fma_f16 v1, v1, 2.0, -v4
	v_fma_f16 v19, v19, 2.0, -v25
	v_sub_f16_e32 v11, v13, v11
	v_sub_f16_e32 v12, v30, v12
	;; [unrolled: 1-line block ×6, first 2 shown]
	v_fma_f16 v9, v9, 2.0, -v31
	v_fma_f16 v26, v26, 2.0, -v8
	;; [unrolled: 1-line block ×4, first 2 shown]
	v_pack_b32_f16 v0, v0, v17
	v_pack_b32_f16 v17, v33, v18
	v_pack_b32_f16 v1, v1, v19
	v_pack_b32_f16 v4, v4, v25
	v_pack_b32_f16 v8, v31, v8
	v_fma_f16 v13, v13, 2.0, -v11
	v_fma_f16 v30, v30, 2.0, -v12
	;; [unrolled: 1-line block ×6, first 2 shown]
	ds_write_b32 v43, v17 offset:1428
	ds_write2_b32 v43, v0, v1 offset1:51
	v_pack_b32_f16 v0, v9, v26
	v_pack_b32_f16 v1, v10, v28
	ds_write2_b32 v6, v4, v8 offset0:152 offset1:203
	v_pack_b32_f16 v4, v7, v27
	v_pack_b32_f16 v8, v11, v12
	;; [unrolled: 1-line block ×7, first 2 shown]
	ds_write2_b32 v43, v0, v1 offset0:102 offset1:153
	ds_write2_b32 v2, v4, v8 offset0:126 offset1:177
	;; [unrolled: 1-line block ×3, first 2 shown]
	ds_write_b32 v43, v3 offset:1224
	ds_write2_b32 v5, v10, v11 offset0:100 offset1:151
	s_waitcnt lgkmcnt(0)
	s_barrier
	buffer_gl0_inv
	ds_read2_b32 v[3:4], v43 offset1:51
	s_waitcnt lgkmcnt(0)
	v_lshrrev_b32_e32 v7, 16, v3
	v_mul_f16_sdwa v0, v56, v7 dst_sel:DWORD dst_unused:UNUSED_PAD src0_sel:WORD_1 src1_sel:DWORD
	v_fmac_f16_e32 v0, v56, v3
	v_mul_f16_sdwa v3, v56, v3 dst_sel:DWORD dst_unused:UNUSED_PAD src0_sel:WORD_1 src1_sel:DWORD
	v_cvt_f32_f16_e32 v0, v0
	v_fma_f16 v3, v56, v7, -v3
	v_cvt_f64_f32_e32 v[0:1], v0
	v_cvt_f32_f16_e32 v3, v3
	v_cvt_f64_f32_e32 v[7:8], v3
	v_mul_f64 v[9:10], v[0:1], s[4:5]
	v_add_nc_u32_e32 v0, 0x200, v43
	v_mul_f64 v[7:8], v[7:8], s[4:5]
	ds_read2_b32 v[0:1], v0 offset0:110 offset1:161
	v_and_or_b32 v3, 0x1ff, v10, v9
	v_lshrrev_b32_e32 v9, 8, v10
	v_bfe_u32 v11, v10, 20, 11
	v_cmp_ne_u32_e64 s0, 0, v3
	v_and_or_b32 v7, 0x1ff, v8, v7
	s_waitcnt lgkmcnt(0)
	v_lshrrev_b32_e32 v15, 16, v0
	v_lshrrev_b32_e32 v14, 8, v8
	v_bfe_u32 v17, v8, 20, 11
	v_cndmask_b32_e64 v3, 0, 1, s0
	v_cmp_ne_u32_e64 s0, 0, v7
	v_mul_f16_sdwa v16, v55, v15 dst_sel:DWORD dst_unused:UNUSED_PAD src0_sel:WORD_1 src1_sel:DWORD
	v_add_nc_u32_e32 v18, 0xfffffc10, v11
	v_lshrrev_b32_e32 v8, 16, v8
	v_and_or_b32 v9, 0xffe, v9, v3
	v_sub_nc_u32_e32 v3, 0x3f1, v11
	v_cndmask_b32_e64 v7, 0, 1, s0
	v_fmac_f16_e32 v16, v55, v0
	v_mul_f16_sdwa v0, v55, v0 dst_sel:DWORD dst_unused:UNUSED_PAD src0_sel:WORD_1 src1_sel:DWORD
	v_or_b32_e32 v12, 0x1000, v9
	v_med3_i32 v3, v3, 0, 13
	v_and_or_b32 v7, 0xffe, v14, v7
	v_sub_nc_u32_e32 v14, 0x3f1, v17
	v_cvt_f32_f16_e32 v11, v16
	v_lshl_or_b32 v25, v18, 12, v9
	v_lshrrev_b32_e32 v13, v3, v12
	v_or_b32_e32 v16, 0x1000, v7
	v_med3_i32 v19, v14, 0, 13
	v_fma_f16 v0, v55, v15, -v0
	v_cmp_eq_u32_e64 s2, 0x40f, v18
	v_lshlrev_b32_e32 v3, v3, v13
	v_lshrrev_b32_e32 v26, v19, v16
	v_cvt_f32_f16_e32 v0, v0
	v_cmp_ne_u32_e64 s0, v3, v12
	v_cvt_f64_f32_e32 v[11:12], v11
	v_lshlrev_b32_e32 v19, v19, v26
	v_cndmask_b32_e64 v3, 0, 1, s0
	v_cmp_gt_i32_e64 s0, 1, v18
	v_or_b32_e32 v3, v13, v3
	v_mad_u64_u32 v[13:14], null, s10, v24, 0
	v_cndmask_b32_e64 v25, v25, v3, s0
	v_cmp_ne_u32_e64 s0, v19, v16
	v_add_nc_u32_e32 v19, 0xfffffc10, v17
	v_mov_b32_e32 v3, v14
	v_and_b32_e32 v27, 7, v25
	v_cndmask_b32_e64 v14, 0, 1, s0
	v_lshrrev_b32_e32 v16, 2, v25
	v_lshl_or_b32 v17, v19, 12, v7
	v_mul_f64 v[11:12], v[11:12], s[4:5]
	v_cmp_lt_i32_e64 s0, 5, v27
	v_cmp_eq_u32_e64 s1, 3, v27
	v_or_b32_e32 v14, v26, v14
	s_or_b32 s0, s1, s0
	v_add_co_ci_u32_e64 v16, s0, 0, v16, s0
	v_cmp_gt_i32_e64 s0, 1, v19
	v_cndmask_b32_e64 v25, v17, v14, s0
	v_cmp_ne_u32_e64 s0, 0, v9
	v_cvt_f64_f32_e32 v[14:15], v0
	v_and_b32_e32 v27, 7, v25
	v_cndmask_b32_e64 v9, 0, 1, s0
	v_cmp_gt_i32_e64 s0, 31, v18
	v_cmp_eq_u32_e64 s1, 3, v27
	v_lshl_or_b32 v9, v9, 9, 0x7c00
	v_cndmask_b32_e64 v26, 0x7c00, v16, s0
	v_cmp_lt_i32_e64 s0, 5, v27
	v_mad_u64_u32 v[16:17], null, s11, v24, v[3:4]
	v_lshrrev_b32_e32 v3, 2, v25
	v_lshrrev_b32_e32 v24, 16, v10
	s_or_b32 s0, s1, s0
	v_cndmask_b32_e64 v0, v26, v9, s2
	v_and_or_b32 v9, 0x1ff, v12, v11
	v_add_co_ci_u32_e64 v10, s0, 0, v3, s0
	v_cmp_ne_u32_e64 s0, 0, v7
	v_lshrrev_b32_e32 v17, 8, v12
	ds_read2_b32 v[2:3], v2 offset0:92 offset1:143
	v_bfe_u32 v25, v12, 20, 11
	v_cndmask_b32_e64 v7, 0, 1, s0
	v_cmp_ne_u32_e64 s0, 0, v9
	v_lshl_or_b32 v7, v7, 9, 0x7c00
	v_cndmask_b32_e64 v11, 0, 1, s0
	v_cmp_gt_i32_e64 s0, 31, v19
	v_and_or_b32 v11, 0xffe, v17, v11
	v_cndmask_b32_e64 v26, 0x7c00, v10, s0
	v_mul_f64 v[9:10], v[14:15], s[4:5]
	v_sub_nc_u32_e32 v14, 0x3f1, v25
	v_mad_u64_u32 v[17:18], null, s8, v53, 0
	v_or_b32_e32 v15, 0x1000, v11
	v_cmp_eq_u32_e64 s0, 0x40f, v19
	v_med3_i32 v27, v14, 0, 13
	v_mov_b32_e32 v14, v16
	v_and_or_b32 v19, 0x8000, v24, v0
	v_cndmask_b32_e64 v7, v26, v7, s0
	v_lshrrev_b32_e32 v16, v27, v15
	v_mov_b32_e32 v0, v18
	s_waitcnt lgkmcnt(0)
	v_lshrrev_b32_e32 v26, 16, v2
	v_lshlrev_b64 v[13:14], 2, v[13:14]
	v_and_or_b32 v24, 0x8000, v8, v7
	v_lshlrev_b32_e32 v18, v27, v16
	v_mad_u64_u32 v[7:8], null, s9, v53, v[0:1]
	v_mul_f16_sdwa v8, v54, v26 dst_sel:DWORD dst_unused:UNUSED_PAD src0_sel:WORD_1 src1_sel:DWORD
	v_and_b32_e32 v0, 0xffff, v19
	v_cmp_ne_u32_e64 s0, v18, v15
	v_and_or_b32 v9, 0x1ff, v10, v9
	v_lshrrev_b32_e32 v18, 8, v10
	v_fmac_f16_e32 v8, v54, v2
	v_add_nc_u32_e32 v19, 0xfffffc10, v25
	v_cndmask_b32_e64 v15, 0, 1, s0
	v_cmp_ne_u32_e64 s0, 0, v9
	v_bfe_u32 v25, v10, 20, 11
	v_cvt_f32_f16_e32 v8, v8
	v_mul_f16_sdwa v2, v54, v2 dst_sel:DWORD dst_unused:UNUSED_PAD src0_sel:WORD_1 src1_sel:DWORD
	v_or_b32_e32 v15, v16, v15
	v_cndmask_b32_e64 v9, 0, 1, s0
	v_lshl_or_b32 v16, v19, 12, v11
	v_cmp_gt_i32_e64 s0, 1, v19
	v_lshl_or_b32 v0, v24, 16, v0
	v_fma_f16 v2, v54, v26, -v2
	v_and_or_b32 v27, 0xffe, v18, v9
	v_cvt_f64_f32_e32 v[8:9], v8
	v_sub_nc_u32_e32 v18, 0x3f1, v25
	v_cndmask_b32_e64 v28, v16, v15, s0
	v_add_co_u32 v29, s0, s6, v13
	v_or_b32_e32 v15, 0x1000, v27
	v_med3_i32 v16, v18, 0, 13
	v_mov_b32_e32 v18, v7
	v_and_b32_e32 v7, 7, v28
	v_cvt_f32_f16_e32 v2, v2
	v_add_co_ci_u32_e64 v30, s0, s7, v14, s0
	v_lshrrev_b32_e32 v24, v16, v15
	v_cmp_lt_i32_e64 s0, 5, v7
	v_cmp_eq_u32_e64 s1, 3, v7
	v_lshlrev_b64 v[13:14], 2, v[17:18]
	v_lshlrev_b32_e32 v16, v16, v24
	s_or_b32 s0, s1, s0
	v_mul_f64 v[7:8], v[8:9], s[4:5]
	v_cmp_ne_u32_e64 s2, v16, v15
	v_cvt_f64_f32_e32 v[15:16], v2
	v_lshrrev_b32_e32 v2, 2, v28
	v_add_nc_u32_e32 v9, 0xfffffc10, v25
	v_cndmask_b32_e64 v17, 0, 1, s2
	v_add_co_u32 v13, s2, v29, v13
	v_add_co_ci_u32_e64 v2, s0, 0, v2, s0
	v_cmp_ne_u32_e64 s0, 0, v11
	v_or_b32_e32 v17, v24, v17
	v_lshl_or_b32 v18, v9, 12, v27
	v_add_co_ci_u32_e64 v14, s2, v30, v14, s2
	v_cndmask_b32_e64 v11, 0, 1, s0
	v_cmp_gt_i32_e64 s0, 1, v9
	s_mul_hi_u32 s2, s8, 0xee
	global_store_dword v[13:14], v0, off
	v_mul_f16_sdwa v29, v51, v1 dst_sel:DWORD dst_unused:UNUSED_PAD src0_sel:WORD_1 src1_sel:DWORD
	v_lshl_or_b32 v11, v11, 9, 0x7c00
	v_cndmask_b32_e64 v17, v18, v17, s0
	v_cmp_gt_i32_e64 s0, 31, v19
	v_and_or_b32 v7, 0x1ff, v8, v7
	v_lshrrev_b32_e32 v18, 16, v12
	v_and_b32_e32 v0, 7, v17
	v_cndmask_b32_e64 v2, 0x7c00, v2, s0
	v_cmp_eq_u32_e64 s0, 0x40f, v19
	v_cmp_ne_u32_e64 s1, 0, v7
	v_lshrrev_b32_e32 v19, 16, v4
	v_cndmask_b32_e64 v2, v2, v11, s0
	v_mul_f64 v[11:12], v[15:16], s[4:5]
	v_cmp_lt_i32_e64 s0, 5, v0
	v_cndmask_b32_e64 v7, 0, 1, s1
	v_cmp_eq_u32_e64 s1, 3, v0
	v_and_or_b32 v0, 0x8000, v18, v2
	v_lshrrev_b32_e32 v2, 2, v17
	v_lshrrev_b32_e32 v15, 8, v8
	v_bfe_u32 v16, v8, 20, 11
	s_or_b32 s0, s1, s0
	s_mul_i32 s1, s9, 0xee
	v_add_co_ci_u32_e64 v2, s0, 0, v2, s0
	v_and_or_b32 v7, 0xffe, v15, v7
	v_sub_nc_u32_e32 v15, 0x3f1, v16
	v_cmp_ne_u32_e64 s0, 0, v27
	s_add_i32 s3, s2, s1
	v_and_b32_e32 v0, 0xffff, v0
	v_or_b32_e32 v18, 0x1000, v7
	v_med3_i32 v15, v15, 0, 13
	v_cndmask_b32_e64 v17, 0, 1, s0
	v_cmp_gt_i32_e64 s0, 31, v9
	s_mul_i32 s2, s8, 0xee
	v_and_or_b32 v11, 0x1ff, v12, v11
	v_lshrrev_b32_e32 v24, v15, v18
	v_lshl_or_b32 v17, v17, 9, 0x7c00
	v_cndmask_b32_e64 v2, 0x7c00, v2, s0
	v_cmp_eq_u32_e64 s0, 0x40f, v9
	v_bfe_u32 v25, v12, 20, 11
	v_mul_f16_sdwa v9, v52, v19 dst_sel:DWORD dst_unused:UNUSED_PAD src0_sel:WORD_1 src1_sel:DWORD
	s_lshl_b64 s[6:7], s[2:3], 2
	v_cndmask_b32_e64 v2, v2, v17, s0
	v_lshrrev_b32_e32 v17, 16, v10
	v_lshlrev_b32_e32 v10, v15, v24
	v_cmp_ne_u32_e64 s0, 0, v11
	v_lshrrev_b32_e32 v15, 8, v12
	v_fmac_f16_e32 v9, v52, v4
	v_and_or_b32 v2, 0x8000, v17, v2
	v_mul_f16_sdwa v4, v52, v4 dst_sel:DWORD dst_unused:UNUSED_PAD src0_sel:WORD_1 src1_sel:DWORD
	v_cndmask_b32_e64 v11, 0, 1, s0
	v_cmp_ne_u32_e64 s0, v10, v18
	v_add_nc_u32_e32 v18, 0xfffffc10, v16
	v_cvt_f32_f16_e32 v9, v9
	v_fma_f16 v4, v52, v19, -v4
	v_and_or_b32 v11, 0xffe, v15, v11
	v_cndmask_b32_e64 v10, 0, 1, s0
	v_sub_nc_u32_e32 v15, 0x3f1, v25
	v_cmp_gt_i32_e64 s0, 1, v18
	v_add_nc_u32_e32 v19, 0xfffffc10, v25
	v_or_b32_e32 v26, 0x1000, v11
	v_or_b32_e32 v16, v24, v10
	v_lshl_or_b32 v24, v18, 12, v7
	v_med3_i32 v15, v15, 0, 13
	v_cvt_f64_f32_e32 v[9:10], v9
	v_cvt_f32_f16_e32 v4, v4
	v_lshl_or_b32 v2, v2, 16, v0
	v_cndmask_b32_e64 v16, v24, v16, s0
	v_lshrrev_b32_e32 v24, v15, v26
	v_and_b32_e32 v17, 7, v16
	v_lshlrev_b32_e32 v15, v15, v24
	v_cmp_lt_i32_e64 s0, 5, v17
	v_cmp_ne_u32_e64 s1, v15, v26
	v_cndmask_b32_e64 v15, 0, 1, s1
	v_cmp_eq_u32_e64 s1, 3, v17
	v_lshrrev_b32_e32 v17, 2, v16
	v_mul_f64 v[9:10], v[9:10], s[4:5]
	v_or_b32_e32 v24, v24, v15
	s_or_b32 s0, s1, s0
	v_cvt_f64_f32_e32 v[15:16], v4
	v_add_co_ci_u32_e64 v17, s0, 0, v17, s0
	v_cmp_ne_u32_e64 s0, 0, v7
	v_lshl_or_b32 v4, v19, 12, v11
	v_cndmask_b32_e64 v7, 0, 1, s0
	v_cmp_gt_i32_e64 s0, 1, v19
	v_lshl_or_b32 v7, v7, 9, 0x7c00
	v_cndmask_b32_e64 v4, v4, v24, s0
	v_cmp_gt_i32_e64 s0, 31, v18
	v_lshrrev_b32_e32 v24, 16, v1
	v_and_or_b32 v9, 0x1ff, v10, v9
	v_and_b32_e32 v0, 7, v4
	v_cndmask_b32_e64 v17, 0x7c00, v17, s0
	v_cmp_eq_u32_e64 s0, 0x40f, v18
	v_lshrrev_b32_e32 v18, 16, v8
	v_cmp_ne_u32_e64 s2, 0, v9
	v_cmp_eq_u32_e64 s1, 3, v0
	v_lshrrev_b32_e32 v9, 8, v10
	v_cndmask_b32_e64 v17, v17, v7, s0
	v_cmp_lt_i32_e64 s0, 5, v0
	v_lshrrev_b32_e32 v0, 2, v4
	v_mul_f64 v[7:8], v[15:16], s[4:5]
	v_cndmask_b32_e64 v4, 0, 1, s2
	v_bfe_u32 v15, v10, 20, 11
	s_or_b32 s0, s1, s0
	v_and_or_b32 v17, 0x8000, v18, v17
	v_add_co_ci_u32_e64 v0, s0, 0, v0, s0
	v_cmp_ne_u32_e64 s0, 0, v11
	v_and_or_b32 v4, 0xffe, v9, v4
	v_sub_nc_u32_e32 v9, 0x3f1, v15
	v_add_nc_u32_e32 v26, 0xfffffc10, v15
	v_lshrrev_b32_e32 v10, 16, v10
	v_cndmask_b32_e64 v11, 0, 1, s0
	v_cmp_gt_i32_e64 s0, 31, v19
	v_or_b32_e32 v16, 0x1000, v4
	v_med3_i32 v9, v9, 0, 13
	s_mul_i32 s2, s9, 0xfffffe57
	v_lshl_or_b32 v11, v11, 9, 0x7c00
	v_cndmask_b32_e64 v0, 0x7c00, v0, s0
	v_cmp_eq_u32_e64 s0, 0x40f, v19
	v_lshrrev_b32_e32 v19, v9, v16
	v_and_or_b32 v7, 0x1ff, v8, v7
	v_lshrrev_b32_e32 v18, 8, v8
	v_cndmask_b32_e64 v0, v0, v11, s0
	v_lshrrev_b32_e32 v11, 16, v12
	v_mul_f16_sdwa v12, v51, v24 dst_sel:DWORD dst_unused:UNUSED_PAD src0_sel:WORD_1 src1_sel:DWORD
	v_lshlrev_b32_e32 v9, v9, v19
	v_cmp_ne_u32_e64 s0, 0, v7
	v_bfe_u32 v25, v8, 20, 11
	v_and_or_b32 v0, 0x8000, v11, v0
	v_fmac_f16_e32 v12, v51, v1
	v_cndmask_b32_e64 v7, 0, 1, s0
	v_cmp_ne_u32_e64 s0, v9, v16
	v_sub_nc_u32_e32 v15, 0x3f1, v25
	v_cvt_f32_f16_e32 v11, v12
	v_and_b32_e32 v16, 0xffff, v17
	v_and_or_b32 v7, 0xffe, v18, v7
	v_cndmask_b32_e64 v9, 0, 1, s0
	v_add_co_u32 v13, s0, v13, s6
	v_cvt_f64_f32_e32 v[11:12], v11
	v_add_co_ci_u32_e64 v14, s0, s7, v14, s0
	v_or_b32_e32 v9, v19, v9
	v_lshl_or_b32 v17, v26, 12, v4
	v_or_b32_e32 v18, 0x1000, v7
	v_med3_i32 v19, v15, 0, 13
	v_cmp_gt_i32_e64 s0, 1, v26
	v_lshl_or_b32 v27, v0, 16, v16
	v_cndmask_b32_e64 v9, v17, v9, s0
	v_lshrrev_b32_e32 v17, v19, v18
	v_add_co_u32 v15, s0, v13, s6
	v_add_co_ci_u32_e64 v16, s0, s7, v14, s0
	v_and_b32_e32 v28, 7, v9
	global_store_dword v[13:14], v2, off
	global_store_dword v[15:16], v27, off
	v_fma_f16 v2, v51, v24, -v29
	v_mul_f64 v[0:1], v[11:12], s[4:5]
	v_lshlrev_b32_e32 v11, v19, v17
	v_cmp_lt_i32_e64 s0, 5, v28
	v_lshrrev_b32_e32 v9, 2, v9
	v_cvt_f32_f16_e32 v2, v2
	v_add_nc_u32_e32 v13, 0xfffffc10, v25
	v_cmp_ne_u32_e64 s1, v11, v18
	v_cndmask_b32_e64 v11, 0, 1, s1
	v_cmp_eq_u32_e64 s1, 3, v28
	v_or_b32_e32 v14, v17, v11
	s_or_b32 s0, s1, s0
	v_cvt_f64_f32_e32 v[11:12], v2
	v_add_co_ci_u32_e64 v2, s0, 0, v9, s0
	v_cmp_ne_u32_e64 s0, 0, v4
	v_lshl_or_b32 v17, v13, 12, v7
	v_and_or_b32 v0, 0x1ff, v1, v0
	v_bfe_u32 v18, v1, 20, 11
	v_cndmask_b32_e64 v4, 0, 1, s0
	v_cmp_gt_i32_e64 s0, 1, v13
	v_lshl_or_b32 v4, v4, 9, 0x7c00
	v_cndmask_b32_e64 v9, v17, v14, s0
	v_cmp_gt_i32_e64 s0, 31, v26
	v_lshrrev_b32_e32 v17, 8, v1
	v_and_b32_e32 v14, 7, v9
	v_cndmask_b32_e64 v2, 0x7c00, v2, s0
	v_cmp_ne_u32_e64 s0, 0, v0
	v_mul_f64 v[11:12], v[11:12], s[4:5]
	v_lshrrev_b32_e32 v9, 2, v9
	v_cmp_eq_u32_e64 s1, 3, v14
	v_cndmask_b32_e64 v0, 0, 1, s0
	v_cmp_eq_u32_e64 s0, 0x40f, v26
	v_and_or_b32 v0, 0xffe, v17, v0
	v_cndmask_b32_e64 v2, v2, v4, s0
	v_cmp_lt_i32_e64 s0, 5, v14
	v_sub_nc_u32_e32 v4, 0x3f1, v18
	v_or_b32_e32 v14, 0x1000, v0
	v_and_or_b32 v2, 0x8000, v10, v2
	s_or_b32 s0, s1, s0
	v_med3_i32 v4, v4, 0, 13
	v_add_co_ci_u32_e64 v9, s0, 0, v9, s0
	v_cmp_ne_u32_e64 s0, 0, v7
	v_lshrrev_b32_e32 v10, 16, v3
	v_lshrrev_b32_e32 v17, v4, v14
	v_and_or_b32 v11, 0x1ff, v12, v11
	v_cndmask_b32_e64 v7, 0, 1, s0
	v_cmp_gt_i32_e64 s0, 31, v13
	v_lshlrev_b32_e32 v4, v4, v17
	v_lshl_or_b32 v7, v7, 9, 0x7c00
	v_cndmask_b32_e64 v9, 0x7c00, v9, s0
	v_cmp_eq_u32_e64 s0, 0x40f, v13
	v_add_nc_u32_e32 v13, 0xfffffc10, v18
	v_bfe_u32 v18, v12, 20, 11
	v_cndmask_b32_e64 v9, v9, v7, s0
	v_cmp_ne_u32_e64 s0, v4, v14
	v_mul_f16_sdwa v7, v50, v10 dst_sel:DWORD dst_unused:UNUSED_PAD src0_sel:WORD_1 src1_sel:DWORD
	v_lshrrev_b32_e32 v14, 16, v8
	v_lshl_or_b32 v8, v13, 12, v0
	v_cndmask_b32_e64 v4, 0, 1, s0
	v_fmac_f16_e32 v7, v50, v3
	v_cmp_ne_u32_e64 s0, 0, v11
	v_and_or_b32 v9, 0x8000, v14, v9
	v_mul_f16_sdwa v3, v50, v3 dst_sel:DWORD dst_unused:UNUSED_PAD src0_sel:WORD_1 src1_sel:DWORD
	v_or_b32_e32 v4, v17, v4
	v_cvt_f32_f16_e32 v7, v7
	v_cndmask_b32_e64 v11, 0, 1, s0
	v_cmp_gt_i32_e64 s0, 1, v13
	v_lshrrev_b32_e32 v17, 8, v12
	v_fma_f16 v3, v50, v10, -v3
	v_lshrrev_b32_e32 v12, 16, v12
	v_cndmask_b32_e64 v4, v8, v4, s0
	v_cvt_f64_f32_e32 v[7:8], v7
	v_and_or_b32 v11, 0xffe, v17, v11
	v_sub_nc_u32_e32 v17, 0x3f1, v18
	s_mul_hi_u32 s0, s8, 0xfffffe57
	v_and_b32_e32 v14, 7, v4
	s_sub_i32 s3, s0, s8
	v_or_b32_e32 v19, 0x1000, v11
	v_med3_i32 v17, v17, 0, 13
	v_lshrrev_b32_e32 v4, 2, v4
	v_cmp_lt_i32_e64 s0, 5, v14
	v_cmp_eq_u32_e64 s1, 3, v14
	v_add_nc_u32_e32 v18, 0xfffffc10, v18
	v_lshrrev_b32_e32 v24, v17, v19
	s_add_i32 s3, s3, s2
	s_mul_i32 s2, s8, 0xfffffe57
	s_or_b32 s0, s1, s0
	s_lshl_b64 s[8:9], s[2:3], 2
	v_lshlrev_b32_e32 v10, v17, v24
	v_add_co_ci_u32_e64 v14, s0, 0, v4, s0
	v_cvt_f32_f16_e32 v17, v3
	v_cmp_ne_u32_e64 s0, v10, v19
	v_mul_f64 v[3:4], v[7:8], s[4:5]
	v_and_b32_e32 v19, 0xffff, v2
	v_cvt_f64_f32_e32 v[7:8], v17
	v_lshl_or_b32 v17, v18, 12, v11
	v_cndmask_b32_e64 v10, 0, 1, s0
	v_cmp_ne_u32_e64 s0, 0, v0
	v_or_b32_e32 v10, v24, v10
	v_cndmask_b32_e64 v0, 0, 1, s0
	v_cmp_gt_i32_e64 s0, 31, v13
	v_lshl_or_b32 v0, v0, 9, 0x7c00
	v_cndmask_b32_e64 v14, 0x7c00, v14, s0
	v_cmp_gt_i32_e64 s0, 1, v18
	v_cndmask_b32_e64 v10, v17, v10, s0
	v_cmp_eq_u32_e64 s0, 0x40f, v13
	v_lshrrev_b32_e32 v13, 16, v1
	ds_read2_b32 v[1:2], v43 offset0:102 offset1:153
	v_and_or_b32 v3, 0x1ff, v4, v3
	v_mul_f64 v[7:8], v[7:8], s[4:5]
	v_cndmask_b32_e64 v0, v14, v0, s0
	v_and_b32_e32 v14, 7, v10
	v_lshl_or_b32 v17, v9, 16, v19
	v_cmp_ne_u32_e64 s2, 0, v3
	v_lshrrev_b32_e32 v9, 2, v10
	v_and_or_b32 v0, 0x8000, v13, v0
	v_cmp_lt_i32_e64 s0, 5, v14
	v_cmp_eq_u32_e64 s1, 3, v14
	v_cndmask_b32_e64 v3, 0, 1, s2
	v_lshrrev_b32_e32 v10, 8, v4
	v_bfe_u32 v13, v4, 20, 11
	v_and_b32_e32 v0, 0xffff, v0
	s_or_b32 s0, s1, s0
	v_lshrrev_b32_e32 v4, 16, v4
	v_add_co_ci_u32_e64 v9, s0, 0, v9, s0
	v_and_or_b32 v3, 0xffe, v10, v3
	v_sub_nc_u32_e32 v10, 0x3f1, v13
	v_cmp_ne_u32_e64 s0, 0, v11
	s_waitcnt lgkmcnt(0)
	v_lshrrev_b32_e32 v19, 16, v1
	v_or_b32_e32 v14, 0x1000, v3
	v_med3_i32 v10, v10, 0, 13
	v_cndmask_b32_e64 v11, 0, 1, s0
	v_cmp_gt_i32_e64 s0, 31, v18
	v_mul_f16_sdwa v24, v49, v19 dst_sel:DWORD dst_unused:UNUSED_PAD src0_sel:WORD_1 src1_sel:DWORD
	v_and_or_b32 v7, 0x1ff, v8, v7
	v_lshrrev_b32_e32 v25, v10, v14
	v_lshl_or_b32 v11, v11, 9, 0x7c00
	v_cndmask_b32_e64 v9, 0x7c00, v9, s0
	v_cmp_eq_u32_e64 s0, 0x40f, v18
	v_fmac_f16_e32 v24, v49, v1
	v_lshlrev_b32_e32 v18, v10, v25
	v_bfe_u32 v26, v8, 20, 11
	v_mul_f16_sdwa v1, v49, v1 dst_sel:DWORD dst_unused:UNUSED_PAD src0_sel:WORD_1 src1_sel:DWORD
	v_cndmask_b32_e64 v11, v9, v11, s0
	v_cmp_ne_u32_e64 s0, 0, v7
	v_cvt_f32_f16_e32 v9, v24
	v_lshrrev_b32_e32 v24, 8, v8
	v_fma_f16 v1, v49, v19, -v1
	v_and_or_b32 v27, 0x8000, v12, v11
	v_cndmask_b32_e64 v7, 0, 1, s0
	v_cmp_ne_u32_e64 s0, v18, v14
	v_cvt_f64_f32_e32 v[9:10], v9
	v_add_nc_u32_e32 v18, 0xfffffc10, v13
	v_lshl_or_b32 v27, v27, 16, v0
	v_and_or_b32 v24, 0xffe, v24, v7
	v_cndmask_b32_e64 v14, 0, 1, s0
	v_sub_nc_u32_e32 v7, 0x3f1, v26
	v_cmp_gt_i32_e64 s0, 1, v18
	v_add_nc_u32_e32 v19, 0xfffffc10, v26
	v_cvt_f32_f16_e32 v1, v1
	v_or_b32_e32 v13, v25, v14
	v_or_b32_e32 v25, 0x1000, v24
	v_med3_i32 v7, v7, 0, 13
	v_lshl_or_b32 v14, v18, 12, v3
	v_lshrrev_b32_e32 v8, 16, v8
	v_lshrrev_b32_e32 v29, v7, v25
	v_cndmask_b32_e64 v28, v14, v13, s0
	v_add_co_u32 v11, s0, v15, s8
	v_add_co_ci_u32_e64 v12, s0, s9, v16, s0
	v_lshlrev_b32_e32 v7, v7, v29
	v_and_b32_e32 v0, 7, v28
	v_mul_f64 v[9:10], v[9:10], s[4:5]
	v_add_co_u32 v13, s0, v11, s6
	v_cmp_ne_u32_e64 s1, v7, v25
	v_add_co_ci_u32_e64 v14, s0, s7, v12, s0
	v_cmp_lt_i32_e64 s0, 5, v0
	v_cvt_f64_f32_e32 v[15:16], v1
	v_cndmask_b32_e64 v7, 0, 1, s1
	v_cmp_eq_u32_e64 s1, 3, v0
	v_lshrrev_b32_e32 v0, 2, v28
	v_lshl_or_b32 v25, v19, 12, v24
	v_or_b32_e32 v7, v29, v7
	s_or_b32 s0, s1, s0
	v_add_co_ci_u32_e64 v26, s0, 0, v0, s0
	v_cmp_ne_u32_e64 s0, 0, v3
	ds_read2_b32 v[0:1], v6 offset0:84 offset1:135
	global_store_dword v[11:12], v17, off
	global_store_dword v[13:14], v27, off
	v_bfe_u32 v28, v10, 20, 11
	v_cndmask_b32_e64 v3, 0, 1, s0
	v_cmp_gt_i32_e64 s0, 1, v19
	v_lshl_or_b32 v3, v3, 9, 0x7c00
	v_cndmask_b32_e64 v25, v25, v7, s0
	v_and_or_b32 v7, 0x1ff, v10, v9
	v_cmp_gt_i32_e64 s0, 31, v18
	v_and_b32_e32 v9, 7, v25
	v_cndmask_b32_e64 v6, 0x7c00, v26, s0
	v_cmp_ne_u32_e64 s0, 0, v7
	v_lshrrev_b32_e32 v26, 8, v10
	v_cmp_eq_u32_e64 s1, 3, v9
	v_cndmask_b32_e64 v7, 0, 1, s0
	v_cmp_eq_u32_e64 s0, 0x40f, v18
	v_and_or_b32 v18, 0xffe, v26, v7
	v_cndmask_b32_e64 v3, v6, v3, s0
	v_cmp_lt_i32_e64 s0, 5, v9
	v_mul_f64 v[6:7], v[15:16], s[4:5]
	v_lshrrev_b32_e32 v9, 2, v25
	v_sub_nc_u32_e32 v26, 0x3f1, v28
	v_or_b32_e32 v15, 0x1000, v18
	s_or_b32 s0, s1, s0
	s_waitcnt lgkmcnt(0)
	v_lshrrev_b32_e32 v25, 16, v0
	v_add_co_ci_u32_e64 v9, s0, 0, v9, s0
	v_med3_i32 v16, v26, 0, 13
	v_cmp_ne_u32_e64 s0, 0, v24
	v_mul_f16_sdwa v29, v48, v25 dst_sel:DWORD dst_unused:UNUSED_PAD src0_sel:WORD_1 src1_sel:DWORD
	v_and_or_b32 v30, 0x8000, v4, v3
	v_lshrrev_b32_e32 v26, v16, v15
	v_cndmask_b32_e64 v24, 0, 1, s0
	v_cmp_gt_i32_e64 s0, 31, v19
	v_fmac_f16_e32 v29, v48, v0
	v_mul_f16_sdwa v0, v48, v0 dst_sel:DWORD dst_unused:UNUSED_PAD src0_sel:WORD_1 src1_sel:DWORD
	v_lshlrev_b32_e32 v3, v16, v26
	v_lshl_or_b32 v24, v24, 9, 0x7c00
	v_cndmask_b32_e64 v9, 0x7c00, v9, s0
	v_cmp_eq_u32_e64 s0, 0x40f, v19
	v_and_or_b32 v4, 0x1ff, v7, v6
	v_cvt_f32_f16_e32 v6, v29
	v_add_nc_u32_e32 v16, 0xfffffc10, v28
	v_fma_f16 v0, v48, v25, -v0
	v_cndmask_b32_e64 v9, v9, v24, s0
	v_cmp_ne_u32_e64 s0, v3, v15
	v_bfe_u32 v24, v7, 20, 11
	v_cvt_f32_f16_e32 v0, v0
	v_and_or_b32 v8, 0x8000, v8, v9
	v_cndmask_b32_e64 v15, 0, 1, s0
	v_cmp_ne_u32_e64 s0, 0, v4
	v_cvt_f64_f32_e32 v[3:4], v6
	v_lshrrev_b32_e32 v6, 8, v7
	v_lshrrev_b32_e32 v7, 16, v7
	v_or_b32_e32 v9, v26, v15
	v_cndmask_b32_e64 v19, 0, 1, s0
	v_lshl_or_b32 v15, v16, 12, v18
	v_cmp_gt_i32_e64 s0, 1, v16
	v_and_b32_e32 v26, 0xffff, v30
	v_and_or_b32 v19, 0xffe, v6, v19
	v_sub_nc_u32_e32 v6, 0x3f1, v24
	v_cndmask_b32_e64 v15, v15, v9, s0
	v_lshl_or_b32 v17, v8, 16, v26
	v_add_co_u32 v8, s0, v13, s6
	v_or_b32_e32 v28, 0x1000, v19
	v_med3_i32 v6, v6, 0, 13
	v_and_b32_e32 v26, 7, v15
	v_add_co_ci_u32_e64 v9, s0, s7, v14, s0
	v_add_nc_u32_e32 v13, 0xfffffc10, v24
	v_lshrrev_b32_e32 v27, v6, v28
	v_mul_f64 v[11:12], v[3:4], s[4:5]
	v_cmp_lt_i32_e64 s0, 5, v26
	v_cmp_eq_u32_e64 s1, 3, v26
	v_lshrrev_b32_e32 v4, 2, v15
	v_lshlrev_b32_e32 v3, v6, v27
	v_lshl_or_b32 v24, v13, 12, v19
	global_store_dword v[8:9], v17, off
	s_or_b32 s0, s1, s0
	v_cmp_ne_u32_e64 s2, v3, v28
	v_add_co_ci_u32_e64 v14, s0, 0, v4, s0
	v_cmp_ne_u32_e64 s0, 0, v18
	v_cndmask_b32_e64 v3, 0, 1, s2
	v_cndmask_b32_e64 v18, 0, 1, s0
	v_cmp_gt_i32_e64 s0, 1, v13
	v_or_b32_e32 v15, v27, v3
	ds_read2_b32 v[3:4], v5 offset0:66 offset1:117
	v_cvt_f64_f32_e32 v[5:6], v0
	v_and_or_b32 v11, 0x1ff, v12, v11
	v_bfe_u32 v25, v12, 20, 11
	v_cndmask_b32_e64 v0, v24, v15, s0
	v_cmp_gt_i32_e64 s0, 31, v16
	v_lshl_or_b32 v15, v18, 9, 0x7c00
	v_lshrrev_b32_e32 v24, 8, v12
	v_lshrrev_b32_e32 v27, 16, v10
	v_and_b32_e32 v18, 7, v0
	v_cndmask_b32_e64 v14, 0x7c00, v14, s0
	v_cmp_ne_u32_e64 s0, 0, v11
	v_lshrrev_b32_e32 v0, 2, v0
	v_lshrrev_b32_e32 v12, 16, v12
	v_cmp_eq_u32_e64 s1, 3, v18
	v_cndmask_b32_e64 v11, 0, 1, s0
	v_cmp_eq_u32_e64 s0, 0x40f, v16
	s_waitcnt lgkmcnt(0)
	v_lshrrev_b32_e32 v16, 16, v3
	v_cndmask_b32_e64 v14, v14, v15, s0
	v_cmp_lt_i32_e64 s0, 5, v18
	v_mul_f64 v[5:6], v[5:6], s[4:5]
	v_and_or_b32 v15, 0xffe, v24, v11
	v_sub_nc_u32_e32 v11, 0x3f1, v25
	v_mul_f16_sdwa v24, v47, v16 dst_sel:DWORD dst_unused:UNUSED_PAD src0_sel:WORD_1 src1_sel:DWORD
	s_or_b32 s0, s1, s0
	v_and_or_b32 v14, 0x8000, v27, v14
	v_add_co_ci_u32_e64 v0, s0, 0, v0, s0
	v_or_b32_e32 v18, 0x1000, v15
	v_med3_i32 v11, v11, 0, 13
	v_cmp_ne_u32_e64 s0, 0, v19
	v_fmac_f16_e32 v24, v47, v3
	v_and_b32_e32 v14, 0xffff, v14
	v_mul_f16_sdwa v3, v47, v3 dst_sel:DWORD dst_unused:UNUSED_PAD src0_sel:WORD_1 src1_sel:DWORD
	v_lshrrev_b32_e32 v26, v11, v18
	v_cndmask_b32_e64 v19, 0, 1, s0
	v_cmp_gt_i32_e64 s0, 31, v13
	v_cvt_f32_f16_e32 v10, v24
	v_fma_f16 v3, v47, v16, -v3
	v_lshlrev_b32_e32 v24, v11, v26
	v_lshl_or_b32 v19, v19, 9, 0x7c00
	v_cndmask_b32_e64 v0, 0x7c00, v0, s0
	v_cmp_eq_u32_e64 s0, 0x40f, v13
	v_and_or_b32 v5, 0x1ff, v6, v5
	v_cvt_f64_f32_e32 v[10:11], v10
	v_cvt_f32_f16_e32 v3, v3
	v_cndmask_b32_e64 v0, v0, v19, s0
	v_cmp_ne_u32_e64 s0, v24, v18
	v_add_nc_u32_e32 v18, 0xfffffc10, v25
	v_lshrrev_b32_e32 v19, 8, v6
	v_bfe_u32 v24, v6, 20, 11
	v_and_or_b32 v0, 0x8000, v7, v0
	v_cndmask_b32_e64 v13, 0, 1, s0
	v_cmp_ne_u32_e64 s0, 0, v5
	v_lshrrev_b32_e32 v6, 16, v6
	v_lshl_or_b32 v0, v0, 16, v14
	v_or_b32_e32 v7, v26, v13
	v_lshl_or_b32 v13, v18, 12, v15
	v_cndmask_b32_e64 v5, 0, 1, s0
	v_cmp_gt_i32_e64 s0, 1, v18
	v_and_or_b32 v5, 0xffe, v19, v5
	v_cndmask_b32_e64 v13, v13, v7, s0
	v_sub_nc_u32_e32 v7, 0x3f1, v24
	v_mul_f64 v[10:11], v[10:11], s[4:5]
	v_or_b32_e32 v17, 0x1000, v5
	v_and_b32_e32 v14, 7, v13
	v_med3_i32 v19, v7, 0, 13
	v_add_co_u32 v7, s0, v8, s8
	v_add_co_ci_u32_e64 v8, s0, s9, v9, s0
	v_lshrrev_b32_e32 v9, v19, v17
	v_cmp_lt_i32_e64 s0, 5, v14
	v_cmp_eq_u32_e64 s1, 3, v14
	global_store_dword v[7:8], v0, off
	v_lshrrev_b32_e32 v0, 2, v13
	v_lshlrev_b32_e32 v13, v19, v9
	s_or_b32 s0, s1, s0
	v_add_co_ci_u32_e64 v0, s0, 0, v0, s0
	v_cmp_ne_u32_e64 s0, v13, v17
	v_add_nc_u32_e32 v17, 0xfffffc10, v24
	v_cvt_f64_f32_e32 v[13:14], v3
	v_and_or_b32 v10, 0x1ff, v11, v10
	v_lshrrev_b32_e32 v24, 16, v2
	v_cndmask_b32_e64 v16, 0, 1, s0
	v_cmp_ne_u32_e64 s0, 0, v15
	v_or_b32_e32 v3, v9, v16
	v_cndmask_b32_e64 v15, 0, 1, s0
	v_cmp_gt_i32_e64 s0, 31, v18
	v_lshl_or_b32 v9, v17, 12, v5
	v_bfe_u32 v16, v11, 20, 11
	v_lshl_or_b32 v15, v15, 9, 0x7c00
	v_cndmask_b32_e64 v0, 0x7c00, v0, s0
	v_cmp_gt_i32_e64 s0, 1, v17
	v_sub_nc_u32_e32 v19, 0x3f1, v16
	v_add_nc_u32_e32 v16, 0xfffffc10, v16
	v_cndmask_b32_e64 v3, v9, v3, s0
	v_cmp_ne_u32_e64 s0, 0, v10
	v_lshrrev_b32_e32 v10, 8, v11
	v_lshrrev_b32_e32 v11, 16, v11
	v_cndmask_b32_e64 v9, 0, 1, s0
	v_cmp_eq_u32_e64 s0, 0x40f, v18
	v_and_or_b32 v18, 0xffe, v10, v9
	v_cndmask_b32_e64 v0, v0, v15, s0
	v_and_b32_e32 v15, 7, v3
	v_mul_f64 v[9:10], v[13:14], s[4:5]
	v_lshrrev_b32_e32 v3, 2, v3
	v_or_b32_e32 v25, 0x1000, v18
	v_med3_i32 v13, v19, 0, 13
	v_cmp_lt_i32_e64 s0, 5, v15
	v_cmp_eq_u32_e64 s1, 3, v15
	v_mul_f16_sdwa v14, v46, v24 dst_sel:DWORD dst_unused:UNUSED_PAD src0_sel:WORD_1 src1_sel:DWORD
	v_and_or_b32 v0, 0x8000, v12, v0
	v_lshrrev_b32_e32 v15, v13, v25
	s_or_b32 s0, s1, s0
	v_fmac_f16_e32 v14, v46, v2
	v_add_co_ci_u32_e64 v3, s0, 0, v3, s0
	v_cmp_ne_u32_e64 s0, 0, v5
	v_and_b32_e32 v0, 0xffff, v0
	v_cvt_f32_f16_e32 v12, v14
	v_lshlrev_b32_e32 v14, v13, v15
	v_mul_f16_sdwa v2, v46, v2 dst_sel:DWORD dst_unused:UNUSED_PAD src0_sel:WORD_1 src1_sel:DWORD
	v_cndmask_b32_e64 v5, 0, 1, s0
	v_cmp_gt_i32_e64 s0, 31, v17
	v_cvt_f64_f32_e32 v[12:13], v12
	v_and_or_b32 v9, 0x1ff, v10, v9
	v_lshl_or_b32 v5, v5, 9, 0x7c00
	v_cndmask_b32_e64 v3, 0x7c00, v3, s0
	v_cmp_ne_u32_e64 s0, v14, v25
	v_cndmask_b32_e64 v14, 0, 1, s0
	v_cmp_eq_u32_e64 s0, 0x40f, v17
	v_bfe_u32 v17, v10, 20, 11
	v_cndmask_b32_e64 v3, v3, v5, s0
	v_cmp_ne_u32_e64 s0, 0, v9
	v_or_b32_e32 v5, v15, v14
	v_lshrrev_b32_e32 v15, 8, v10
	v_lshl_or_b32 v14, v16, 12, v18
	v_and_or_b32 v3, 0x8000, v6, v3
	v_cndmask_b32_e64 v9, 0, 1, s0
	v_cmp_gt_i32_e64 s0, 1, v16
	v_and_or_b32 v9, 0xffe, v15, v9
	v_sub_nc_u32_e32 v15, 0x3f1, v17
	v_cndmask_b32_e64 v14, v14, v5, s0
	v_mul_f64 v[5:6], v[12:13], s[4:5]
	v_lshl_or_b32 v13, v3, 16, v0
	v_or_b32_e32 v25, 0x1000, v9
	v_med3_i32 v12, v15, 0, 13
	v_and_b32_e32 v19, 7, v14
	v_fma_f16 v15, v46, v24, -v2
	v_add_co_u32 v2, s2, v7, s6
	v_lshrrev_b32_e32 v0, v12, v25
	v_cmp_lt_i32_e64 s0, 5, v19
	v_cmp_eq_u32_e64 s1, 3, v19
	v_lshrrev_b32_e32 v7, 2, v14
	v_add_co_ci_u32_e64 v3, s2, s7, v8, s2
	v_lshlrev_b32_e32 v8, v12, v0
	s_or_b32 s0, s1, s0
	v_cvt_f32_f16_e32 v12, v15
	v_add_co_ci_u32_e64 v14, s0, 0, v7, s0
	v_cmp_ne_u32_e64 s0, v8, v25
	v_add_nc_u32_e32 v17, 0xfffffc10, v17
	v_cvt_f64_f32_e32 v[7:8], v12
	v_and_or_b32 v5, 0x1ff, v6, v5
	v_bfe_u32 v19, v6, 20, 11
	v_cndmask_b32_e64 v15, 0, 1, s0
	v_cmp_gt_i32_e64 s0, 31, v16
	v_or_b32_e32 v0, v0, v15
	v_cndmask_b32_e64 v12, 0x7c00, v14, s0
	v_cmp_ne_u32_e64 s0, 0, v5
	v_lshl_or_b32 v14, v17, 12, v9
	v_lshrrev_b32_e32 v15, 8, v6
	v_cndmask_b32_e64 v5, 0, 1, s0
	v_cmp_ne_u32_e64 s0, 0, v18
	v_and_or_b32 v5, 0xffe, v15, v5
	v_cndmask_b32_e64 v18, 0, 1, s0
	v_cmp_gt_i32_e64 s0, 1, v17
	v_mul_f64 v[7:8], v[7:8], s[4:5]
	v_or_b32_e32 v25, 0x1000, v5
	v_lshl_or_b32 v15, v18, 9, 0x7c00
	v_cndmask_b32_e64 v0, v14, v0, s0
	v_sub_nc_u32_e32 v14, 0x3f1, v19
	v_cmp_eq_u32_e64 s0, 0x40f, v16
	v_lshrrev_b32_e32 v18, 16, v1
	v_add_nc_u32_e32 v19, 0xfffffc10, v19
	v_and_b32_e32 v24, 7, v0
	v_med3_i32 v14, v14, 0, 13
	v_cndmask_b32_e64 v12, v12, v15, s0
	v_lshrrev_b32_e32 v0, 2, v0
	v_mul_f16_sdwa v26, v45, v18 dst_sel:DWORD dst_unused:UNUSED_PAD src0_sel:WORD_1 src1_sel:DWORD
	v_cmp_lt_i32_e64 s0, 5, v24
	v_lshrrev_b32_e32 v15, v14, v25
	v_cmp_eq_u32_e64 s1, 3, v24
	v_and_or_b32 v16, 0x8000, v11, v12
	v_fmac_f16_e32 v26, v45, v1
	v_mul_f16_sdwa v1, v45, v1 dst_sel:DWORD dst_unused:UNUSED_PAD src0_sel:WORD_1 src1_sel:DWORD
	v_lshlrev_b32_e32 v11, v14, v15
	s_or_b32 s0, s1, s0
	v_and_or_b32 v7, 0x1ff, v8, v7
	v_add_co_ci_u32_e64 v0, s0, 0, v0, s0
	v_cmp_ne_u32_e64 s0, v11, v25
	v_cvt_f32_f16_e32 v12, v26
	v_bfe_u32 v24, v8, 20, 11
	v_fma_f16 v1, v45, v18, -v1
	v_lshrrev_b32_e32 v18, 16, v6
	v_cndmask_b32_e64 v14, 0, 1, s0
	v_cmp_ne_u32_e64 s0, 0, v9
	v_cvt_f64_f32_e32 v[11:12], v12
	v_or_b32_e32 v14, v15, v14
	v_cndmask_b32_e64 v9, 0, 1, s0
	v_cmp_gt_i32_e64 s0, 31, v17
	v_lshl_or_b32 v15, v19, 12, v5
	v_lshl_or_b32 v9, v9, 9, 0x7c00
	v_cndmask_b32_e64 v0, 0x7c00, v0, s0
	v_cmp_gt_i32_e64 s0, 1, v19
	v_cndmask_b32_e64 v14, v15, v14, s0
	v_cmp_ne_u32_e64 s0, 0, v7
	v_lshrrev_b32_e32 v15, 8, v8
	v_and_b32_e32 v25, 7, v14
	v_cndmask_b32_e64 v7, 0, 1, s0
	v_cmp_eq_u32_e64 s0, 0x40f, v17
	v_lshrrev_b32_e32 v17, 16, v10
	v_lshrrev_b32_e32 v14, 2, v14
	v_cmp_eq_u32_e64 s1, 3, v25
	v_and_or_b32 v7, 0xffe, v15, v7
	v_sub_nc_u32_e32 v15, 0x3f1, v24
	v_cndmask_b32_e64 v0, v0, v9, s0
	v_cmp_lt_i32_e64 s0, 5, v25
	v_mul_f64 v[9:10], v[11:12], s[4:5]
	v_or_b32_e32 v11, 0x1000, v7
	v_med3_i32 v12, v15, 0, 13
	v_and_or_b32 v0, 0x8000, v17, v0
	s_or_b32 s0, s1, s0
	v_and_b32_e32 v15, 0xffff, v16
	v_add_co_ci_u32_e64 v14, s0, 0, v14, s0
	v_lshrrev_b32_e32 v16, v12, v11
	v_cmp_ne_u32_e64 s0, 0, v5
	v_lshl_or_b32 v15, v0, 16, v15
	v_lshlrev_b32_e32 v0, v12, v16
	v_cndmask_b32_e64 v5, 0, 1, s0
	v_cmp_gt_i32_e64 s0, 31, v19
	v_lshl_or_b32 v5, v5, 9, 0x7c00
	v_cndmask_b32_e64 v12, 0x7c00, v14, s0
	v_cmp_ne_u32_e64 s0, v0, v11
	v_and_or_b32 v9, 0x1ff, v10, v9
	v_add_nc_u32_e32 v14, 0xfffffc10, v24
	v_bfe_u32 v17, v10, 20, 11
	v_cndmask_b32_e64 v0, 0, 1, s0
	v_cmp_eq_u32_e64 s0, 0x40f, v19
	v_cndmask_b32_e64 v11, v12, v5, s0
	v_cmp_ne_u32_e64 s0, 0, v9
	v_or_b32_e32 v5, v16, v0
	v_cvt_f32_f16_e32 v0, v1
	v_lshl_or_b32 v12, v14, 12, v7
	v_lshrrev_b32_e32 v16, 8, v10
	v_cndmask_b32_e64 v9, 0, 1, s0
	v_cmp_gt_i32_e64 s0, 1, v14
	v_cvt_f64_f32_e32 v[0:1], v0
	v_and_or_b32 v18, 0x8000, v18, v11
	v_lshrrev_b32_e32 v10, 16, v10
	v_and_or_b32 v9, 0xffe, v16, v9
	v_cndmask_b32_e64 v12, v12, v5, s0
	v_sub_nc_u32_e32 v5, 0x3f1, v17
	v_lshrrev_b32_e32 v16, 16, v4
	v_add_nc_u32_e32 v17, 0xfffffc10, v17
	v_or_b32_e32 v24, 0x1000, v9
	v_and_b32_e32 v19, 7, v12
	v_med3_i32 v25, v5, 0, 13
	v_mul_f16_sdwa v26, v44, v16 dst_sel:DWORD dst_unused:UNUSED_PAD src0_sel:WORD_1 src1_sel:DWORD
	v_add_co_u32 v5, s0, v2, s6
	v_add_co_ci_u32_e64 v6, s0, s7, v3, s0
	v_lshrrev_b32_e32 v27, v25, v24
	v_fmac_f16_e32 v26, v44, v4
	v_cmp_lt_i32_e64 s0, 5, v19
	v_cmp_eq_u32_e64 s1, 3, v19
	v_lshrrev_b32_e32 v11, 2, v12
	v_lshlrev_b32_e32 v19, v25, v27
	v_cvt_f32_f16_e32 v12, v26
	v_mul_f64 v[0:1], v[0:1], s[4:5]
	s_or_b32 s0, s1, s0
	v_mul_f16_sdwa v4, v44, v4 dst_sel:DWORD dst_unused:UNUSED_PAD src0_sel:WORD_1 src1_sel:DWORD
	v_add_co_ci_u32_e64 v25, s0, 0, v11, s0
	v_cmp_ne_u32_e64 s0, v19, v24
	v_cvt_f64_f32_e32 v[11:12], v12
	v_lshl_or_b32 v24, v17, 12, v9
	v_fma_f16 v4, v44, v16, -v4
	v_cndmask_b32_e64 v19, 0, 1, s0
	v_cmp_ne_u32_e64 s0, 0, v7
	v_cvt_f32_f16_e32 v4, v4
	v_or_b32_e32 v19, v27, v19
	v_cndmask_b32_e64 v7, 0, 1, s0
	v_cmp_gt_i32_e64 s0, 31, v14
	v_lshl_or_b32 v7, v7, 9, 0x7c00
	v_cndmask_b32_e64 v16, 0x7c00, v25, s0
	v_cmp_gt_i32_e64 s0, 1, v17
	v_and_or_b32 v0, 0x1ff, v1, v0
	v_bfe_u32 v25, v1, 20, 11
	v_cndmask_b32_e64 v19, v24, v19, s0
	v_cmp_eq_u32_e64 s0, 0x40f, v14
	v_mul_f64 v[11:12], v[11:12], s[4:5]
	v_lshrrev_b32_e32 v24, 8, v1
	v_lshrrev_b32_e32 v1, 16, v1
	v_cndmask_b32_e64 v14, v16, v7, s0
	v_lshrrev_b32_e32 v16, 16, v8
	v_cvt_f64_f32_e32 v[7:8], v4
	v_cmp_ne_u32_e64 s0, 0, v0
	v_and_b32_e32 v4, 7, v19
	v_and_or_b32 v14, 0x8000, v16, v14
	v_and_b32_e32 v16, 0xffff, v18
	v_cndmask_b32_e64 v0, 0, 1, s0
	v_cmp_lt_i32_e64 s0, 5, v4
	v_cmp_eq_u32_e64 s1, 3, v4
	v_sub_nc_u32_e32 v18, 0x3f1, v25
	v_lshl_or_b32 v4, v14, 16, v16
	v_lshrrev_b32_e32 v14, 2, v19
	v_and_or_b32 v0, 0xffe, v24, v0
	s_or_b32 s0, s1, s0
	v_med3_i32 v18, v18, 0, 13
	v_add_co_ci_u32_e64 v14, s0, 0, v14, s0
	v_or_b32_e32 v16, 0x1000, v0
	v_cmp_ne_u32_e64 s0, 0, v9
	v_and_or_b32 v11, 0x1ff, v12, v11
	v_lshrrev_b32_e32 v24, 8, v12
	v_mul_f64 v[7:8], v[7:8], s[4:5]
	v_lshrrev_b32_e32 v19, v18, v16
	v_cndmask_b32_e64 v9, 0, 1, s0
	v_cmp_gt_i32_e64 s0, 31, v17
	v_bfe_u32 v26, v12, 20, 11
	v_lshrrev_b32_e32 v12, 16, v12
	v_lshlrev_b32_e32 v18, v18, v19
	v_lshl_or_b32 v9, v9, 9, 0x7c00
	v_cndmask_b32_e64 v14, 0x7c00, v14, s0
	v_cmp_ne_u32_e64 s0, 0, v11
	v_cndmask_b32_e64 v11, 0, 1, s0
	v_cmp_ne_u32_e64 s0, v18, v16
	v_add_nc_u32_e32 v18, 0xfffffc10, v25
	v_and_or_b32 v11, 0xffe, v24, v11
	v_cndmask_b32_e64 v16, 0, 1, s0
	v_sub_nc_u32_e32 v24, 0x3f1, v26
	v_cmp_eq_u32_e64 s0, 0x40f, v17
	v_and_or_b32 v7, 0x1ff, v8, v7
	v_or_b32_e32 v17, 0x1000, v11
	v_bfe_u32 v25, v8, 20, 11
	v_cndmask_b32_e64 v9, v14, v9, s0
	v_or_b32_e32 v14, v19, v16
	v_lshl_or_b32 v16, v18, 12, v0
	v_med3_i32 v19, v24, 0, 13
	v_cmp_gt_i32_e64 s0, 1, v18
	v_lshrrev_b32_e32 v24, 8, v8
	v_and_or_b32 v9, 0x8000, v10, v9
	v_sub_nc_u32_e32 v10, 0x3f1, v25
	v_cndmask_b32_e64 v14, v16, v14, s0
	v_lshrrev_b32_e32 v16, v19, v17
	v_cmp_ne_u32_e64 s0, 0, v7
	v_med3_i32 v10, v10, 0, 13
	v_and_b32_e32 v27, 7, v14
	v_lshlrev_b32_e32 v19, v19, v16
	v_cndmask_b32_e64 v7, 0, 1, s0
	v_lshrrev_b32_e32 v14, 2, v14
	v_cmp_lt_i32_e64 s0, 5, v27
	v_cmp_ne_u32_e64 s1, v19, v17
	v_and_or_b32 v7, 0xffe, v24, v7
	v_add_nc_u32_e32 v24, 0xfffffc10, v26
	v_cndmask_b32_e64 v17, 0, 1, s1
	v_cmp_eq_u32_e64 s1, 3, v27
	v_or_b32_e32 v19, 0x1000, v7
	v_lshl_or_b32 v26, v24, 12, v11
	v_or_b32_e32 v16, v16, v17
	s_or_b32 s0, s1, s0
	v_lshrrev_b32_e32 v17, v10, v19
	v_add_co_ci_u32_e64 v14, s0, 0, v14, s0
	v_cmp_gt_i32_e64 s0, 1, v24
	v_lshlrev_b32_e32 v10, v10, v17
	v_cndmask_b32_e64 v16, v26, v16, s0
	v_cmp_ne_u32_e64 s0, 0, v0
	v_cndmask_b32_e64 v0, 0, 1, s0
	v_cmp_ne_u32_e64 s0, v10, v19
	v_add_nc_u32_e32 v19, 0xfffffc10, v25
	v_and_b32_e32 v25, 7, v16
	v_lshl_or_b32 v0, v0, 9, 0x7c00
	v_cndmask_b32_e64 v10, 0, 1, s0
	v_cmp_gt_i32_e64 s0, 31, v18
	v_cmp_gt_i32_e64 s2, 1, v19
	v_cmp_eq_u32_e64 s1, 3, v25
	v_or_b32_e32 v10, v17, v10
	v_lshl_or_b32 v17, v19, 12, v7
	v_cndmask_b32_e64 v14, 0x7c00, v14, s0
	v_cmp_lt_i32_e64 s0, 5, v25
	v_cndmask_b32_e64 v10, v17, v10, s2
	v_cmp_eq_u32_e64 s2, 0x40f, v18
	s_or_b32 s0, s1, s0
	v_cndmask_b32_e64 v0, v14, v0, s2
	v_lshrrev_b32_e32 v14, 2, v16
	v_and_b32_e32 v16, 7, v10
	v_lshrrev_b32_e32 v10, 2, v10
	v_cmp_gt_i32_e64 s2, 31, v24
	v_and_or_b32 v0, 0x8000, v1, v0
	v_add_co_ci_u32_e64 v14, s0, 0, v14, s0
	v_cmp_ne_u32_e64 s0, 0, v11
	v_cmp_eq_u32_e64 s1, 3, v16
	v_and_b32_e32 v1, 0xffff, v9
	v_cndmask_b32_e64 v14, 0x7c00, v14, s2
	v_cndmask_b32_e64 v11, 0, 1, s0
	v_cmp_lt_i32_e64 s0, 5, v16
	v_lshl_or_b32 v11, v11, 9, 0x7c00
	s_or_b32 s0, s1, s0
	v_add_co_ci_u32_e64 v10, s0, 0, v10, s0
	v_cmp_ne_u32_e64 s0, 0, v7
	v_cndmask_b32_e64 v7, 0, 1, s0
	v_cmp_eq_u32_e64 s0, 0x40f, v24
	v_lshl_or_b32 v7, v7, 9, 0x7c00
	v_cndmask_b32_e64 v11, v14, v11, s0
	v_cmp_gt_i32_e64 s0, 31, v19
	v_and_or_b32 v9, 0x8000, v12, v11
	v_cndmask_b32_e64 v10, 0x7c00, v10, s0
	v_cmp_eq_u32_e64 s0, 0x40f, v19
	v_lshrrev_b32_e32 v11, 16, v8
	v_lshl_or_b32 v12, v0, 16, v1
	v_and_b32_e32 v1, 0xffff, v9
	v_cndmask_b32_e64 v10, v10, v7, s0
	v_add_co_u32 v7, s0, v5, s8
	v_add_co_ci_u32_e64 v8, s0, s9, v6, s0
	v_and_or_b32 v0, 0x8000, v11, v10
	v_add_co_u32 v9, s0, v7, s6
	v_add_co_ci_u32_e64 v10, s0, s7, v8, s0
	v_lshl_or_b32 v11, v0, 16, v1
	v_add_co_u32 v0, s0, v9, s6
	v_add_co_ci_u32_e64 v1, s0, s7, v10, s0
	global_store_dword v[2:3], v13, off
	global_store_dword v[5:6], v15, off
	;; [unrolled: 1-line block ×5, first 2 shown]
	s_and_b32 exec_lo, exec_lo, vcc_lo
	s_cbranch_execz .LBB0_23
; %bb.22:
	global_load_dword v4, v[20:21], off offset:816
	v_add_nc_u32_e32 v2, 0x300, v43
	ds_read2_b32 v[2:3], v2 offset0:12 offset1:250
	s_waitcnt lgkmcnt(0)
	v_lshrrev_b32_e32 v5, 16, v2
	s_waitcnt vmcnt(0)
	v_mul_f16_sdwa v6, v5, v4 dst_sel:DWORD dst_unused:UNUSED_PAD src0_sel:DWORD src1_sel:WORD_1
	v_mul_f16_sdwa v7, v2, v4 dst_sel:DWORD dst_unused:UNUSED_PAD src0_sel:DWORD src1_sel:WORD_1
	v_fmac_f16_e32 v6, v2, v4
	v_fma_f16 v2, v4, v5, -v7
	v_cvt_f32_f16_e32 v4, v6
	v_cvt_f32_f16_e32 v2, v2
	v_cvt_f64_f32_e32 v[4:5], v4
	v_cvt_f64_f32_e32 v[6:7], v2
	v_mul_f64 v[4:5], v[4:5], s[4:5]
	v_mul_f64 v[6:7], v[6:7], s[4:5]
	v_and_or_b32 v2, 0x1ff, v5, v4
	v_and_or_b32 v6, 0x1ff, v7, v6
	v_lshrrev_b32_e32 v4, 8, v5
	v_bfe_u32 v8, v5, 20, 11
	v_lshrrev_b32_e32 v9, 8, v7
	v_cmp_ne_u32_e32 vcc_lo, 0, v2
	v_bfe_u32 v10, v7, 20, 11
	v_lshrrev_b32_e32 v5, 16, v5
	v_sub_nc_u32_e32 v11, 0x3f1, v8
	v_add_nc_u32_e32 v8, 0xfffffc10, v8
	v_cndmask_b32_e64 v2, 0, 1, vcc_lo
	v_cmp_ne_u32_e32 vcc_lo, 0, v6
	v_lshrrev_b32_e32 v7, 16, v7
	v_and_or_b32 v2, 0xffe, v4, v2
	v_cndmask_b32_e64 v6, 0, 1, vcc_lo
	v_sub_nc_u32_e32 v4, 0x3f1, v10
	v_add_nc_u32_e32 v10, 0xfffffc10, v10
	v_and_or_b32 v6, 0xffe, v9, v6
	v_med3_i32 v9, v11, 0, 13
	v_or_b32_e32 v11, 0x1000, v2
	v_med3_i32 v4, v4, 0, 13
	v_or_b32_e32 v12, 0x1000, v6
	v_lshrrev_b32_e32 v13, v9, v11
	v_lshrrev_b32_e32 v14, v4, v12
	v_lshlrev_b32_e32 v9, v9, v13
	v_lshlrev_b32_e32 v4, v4, v14
	v_cmp_ne_u32_e32 vcc_lo, v9, v11
	v_lshl_or_b32 v11, v8, 12, v2
	v_cndmask_b32_e64 v9, 0, 1, vcc_lo
	v_cmp_ne_u32_e32 vcc_lo, v4, v12
	v_lshl_or_b32 v12, v10, 12, v6
	v_or_b32_e32 v9, v13, v9
	v_cndmask_b32_e64 v4, 0, 1, vcc_lo
	v_cmp_gt_i32_e32 vcc_lo, 1, v8
	v_or_b32_e32 v4, v14, v4
	v_cndmask_b32_e32 v9, v11, v9, vcc_lo
	v_cmp_gt_i32_e32 vcc_lo, 1, v10
	v_and_b32_e32 v11, 7, v9
	v_cndmask_b32_e32 v4, v12, v4, vcc_lo
	v_cmp_ne_u32_e32 vcc_lo, 0, v2
	v_lshrrev_b32_e32 v9, 2, v9
	v_cmp_eq_u32_e64 s0, 3, v11
	v_and_b32_e32 v12, 7, v4
	v_cndmask_b32_e64 v2, 0, 1, vcc_lo
	v_cmp_ne_u32_e32 vcc_lo, 0, v6
	v_lshrrev_b32_e32 v4, 2, v4
	v_cmp_lt_i32_e64 s1, 5, v12
	v_cmp_eq_u32_e64 s2, 3, v12
	v_cndmask_b32_e64 v6, 0, 1, vcc_lo
	v_cmp_lt_i32_e32 vcc_lo, 5, v11
	v_lshl_or_b32 v2, v2, 9, 0x7c00
	v_lshl_or_b32 v6, v6, 9, 0x7c00
	s_or_b32 vcc_lo, s0, vcc_lo
	v_add_co_ci_u32_e32 v9, vcc_lo, 0, v9, vcc_lo
	s_or_b32 vcc_lo, s2, s1
	v_add_co_ci_u32_e32 v4, vcc_lo, 0, v4, vcc_lo
	v_cmp_gt_i32_e32 vcc_lo, 31, v8
	v_cndmask_b32_e32 v9, 0x7c00, v9, vcc_lo
	v_cmp_gt_i32_e32 vcc_lo, 31, v10
	v_cndmask_b32_e32 v4, 0x7c00, v4, vcc_lo
	v_cmp_eq_u32_e32 vcc_lo, 0x40f, v8
	v_cndmask_b32_e32 v2, v9, v2, vcc_lo
	v_cmp_eq_u32_e32 vcc_lo, 0x40f, v10
	v_and_or_b32 v2, 0x8000, v5, v2
	v_cndmask_b32_e32 v4, v4, v6, vcc_lo
	v_add_co_u32 v0, vcc_lo, v0, s8
	v_add_co_ci_u32_e32 v1, vcc_lo, s9, v1, vcc_lo
	v_and_or_b32 v4, 0x8000, v7, v4
	v_and_b32_e32 v2, 0xffff, v2
	v_lshl_or_b32 v2, v4, 16, v2
	v_lshrrev_b32_e32 v4, 16, v3
	global_store_dword v[0:1], v2, off
	global_load_dword v2, v[20:21], off offset:1768
	s_waitcnt vmcnt(0)
	v_mul_f16_sdwa v5, v4, v2 dst_sel:DWORD dst_unused:UNUSED_PAD src0_sel:DWORD src1_sel:WORD_1
	v_mul_f16_sdwa v6, v3, v2 dst_sel:DWORD dst_unused:UNUSED_PAD src0_sel:DWORD src1_sel:WORD_1
	v_fmac_f16_e32 v5, v3, v2
	v_fma_f16 v2, v2, v4, -v6
	v_cvt_f32_f16_e32 v3, v5
	v_cvt_f32_f16_e32 v4, v2
	v_cvt_f64_f32_e32 v[2:3], v3
	v_cvt_f64_f32_e32 v[4:5], v4
	v_mul_f64 v[2:3], v[2:3], s[4:5]
	v_mul_f64 v[4:5], v[4:5], s[4:5]
	v_and_or_b32 v2, 0x1ff, v3, v2
	v_and_or_b32 v4, 0x1ff, v5, v4
	v_lshrrev_b32_e32 v6, 8, v3
	v_bfe_u32 v7, v3, 20, 11
	v_lshrrev_b32_e32 v8, 8, v5
	v_cmp_ne_u32_e32 vcc_lo, 0, v2
	v_bfe_u32 v9, v5, 20, 11
	v_lshrrev_b32_e32 v3, 16, v3
	v_sub_nc_u32_e32 v10, 0x3f1, v7
	v_add_nc_u32_e32 v7, 0xfffffc10, v7
	v_cndmask_b32_e64 v2, 0, 1, vcc_lo
	v_cmp_ne_u32_e32 vcc_lo, 0, v4
	v_lshrrev_b32_e32 v5, 16, v5
	v_and_or_b32 v2, 0xffe, v6, v2
	v_cndmask_b32_e64 v4, 0, 1, vcc_lo
	v_sub_nc_u32_e32 v6, 0x3f1, v9
	v_add_nc_u32_e32 v9, 0xfffffc10, v9
	v_and_or_b32 v4, 0xffe, v8, v4
	v_med3_i32 v8, v10, 0, 13
	v_or_b32_e32 v10, 0x1000, v2
	v_med3_i32 v6, v6, 0, 13
	v_or_b32_e32 v11, 0x1000, v4
	v_lshrrev_b32_e32 v12, v8, v10
	v_lshrrev_b32_e32 v13, v6, v11
	v_lshlrev_b32_e32 v8, v8, v12
	v_lshlrev_b32_e32 v6, v6, v13
	v_cmp_ne_u32_e32 vcc_lo, v8, v10
	v_lshl_or_b32 v10, v7, 12, v2
	v_cndmask_b32_e64 v8, 0, 1, vcc_lo
	v_cmp_ne_u32_e32 vcc_lo, v6, v11
	v_lshl_or_b32 v11, v9, 12, v4
	v_or_b32_e32 v8, v12, v8
	v_cndmask_b32_e64 v6, 0, 1, vcc_lo
	v_cmp_gt_i32_e32 vcc_lo, 1, v7
	v_or_b32_e32 v6, v13, v6
	v_cndmask_b32_e32 v8, v10, v8, vcc_lo
	v_cmp_gt_i32_e32 vcc_lo, 1, v9
	v_and_b32_e32 v10, 7, v8
	v_cndmask_b32_e32 v6, v11, v6, vcc_lo
	v_cmp_ne_u32_e32 vcc_lo, 0, v2
	v_lshrrev_b32_e32 v8, 2, v8
	v_cmp_eq_u32_e64 s0, 3, v10
	v_and_b32_e32 v11, 7, v6
	v_cndmask_b32_e64 v2, 0, 1, vcc_lo
	v_cmp_ne_u32_e32 vcc_lo, 0, v4
	v_lshrrev_b32_e32 v6, 2, v6
	v_cmp_lt_i32_e64 s1, 5, v11
	v_cmp_eq_u32_e64 s2, 3, v11
	v_cndmask_b32_e64 v4, 0, 1, vcc_lo
	v_cmp_lt_i32_e32 vcc_lo, 5, v10
	v_lshl_or_b32 v2, v2, 9, 0x7c00
	v_lshl_or_b32 v4, v4, 9, 0x7c00
	s_or_b32 vcc_lo, s0, vcc_lo
	v_add_co_ci_u32_e32 v8, vcc_lo, 0, v8, vcc_lo
	s_or_b32 vcc_lo, s2, s1
	v_add_co_ci_u32_e32 v6, vcc_lo, 0, v6, vcc_lo
	v_cmp_gt_i32_e32 vcc_lo, 31, v7
	v_cndmask_b32_e32 v8, 0x7c00, v8, vcc_lo
	v_cmp_gt_i32_e32 vcc_lo, 31, v9
	v_cndmask_b32_e32 v6, 0x7c00, v6, vcc_lo
	v_cmp_eq_u32_e32 vcc_lo, 0x40f, v7
	v_cndmask_b32_e32 v2, v8, v2, vcc_lo
	v_cmp_eq_u32_e32 vcc_lo, 0x40f, v9
	v_and_or_b32 v2, 0x8000, v3, v2
	v_cndmask_b32_e32 v4, v6, v4, vcc_lo
	v_add_co_u32 v0, vcc_lo, v0, s6
	v_add_co_ci_u32_e32 v1, vcc_lo, s7, v1, vcc_lo
	v_and_or_b32 v3, 0x8000, v5, v4
	v_and_b32_e32 v2, 0xffff, v2
	v_lshl_or_b32 v2, v3, 16, v2
	ds_read_b32 v3, v43 offset:2720
	global_store_dword v[0:1], v2, off
	global_load_dword v2, v[22:23], off offset:672
	s_waitcnt lgkmcnt(0)
	v_lshrrev_b32_e32 v4, 16, v3
	s_waitcnt vmcnt(0)
	v_mul_f16_sdwa v5, v4, v2 dst_sel:DWORD dst_unused:UNUSED_PAD src0_sel:DWORD src1_sel:WORD_1
	v_mul_f16_sdwa v6, v3, v2 dst_sel:DWORD dst_unused:UNUSED_PAD src0_sel:DWORD src1_sel:WORD_1
	v_fmac_f16_e32 v5, v3, v2
	v_fma_f16 v2, v2, v4, -v6
	v_cvt_f32_f16_e32 v3, v5
	v_cvt_f32_f16_e32 v4, v2
	v_cvt_f64_f32_e32 v[2:3], v3
	v_cvt_f64_f32_e32 v[4:5], v4
	v_mul_f64 v[2:3], v[2:3], s[4:5]
	v_mul_f64 v[4:5], v[4:5], s[4:5]
	v_and_or_b32 v2, 0x1ff, v3, v2
	v_and_or_b32 v4, 0x1ff, v5, v4
	v_lshrrev_b32_e32 v6, 8, v3
	v_bfe_u32 v7, v3, 20, 11
	v_lshrrev_b32_e32 v8, 8, v5
	v_cmp_ne_u32_e32 vcc_lo, 0, v2
	v_bfe_u32 v9, v5, 20, 11
	v_lshrrev_b32_e32 v3, 16, v3
	v_sub_nc_u32_e32 v10, 0x3f1, v7
	v_add_nc_u32_e32 v7, 0xfffffc10, v7
	v_cndmask_b32_e64 v2, 0, 1, vcc_lo
	v_cmp_ne_u32_e32 vcc_lo, 0, v4
	v_lshrrev_b32_e32 v5, 16, v5
	v_and_or_b32 v2, 0xffe, v6, v2
	v_cndmask_b32_e64 v4, 0, 1, vcc_lo
	v_sub_nc_u32_e32 v6, 0x3f1, v9
	v_add_nc_u32_e32 v9, 0xfffffc10, v9
	v_and_or_b32 v4, 0xffe, v8, v4
	v_med3_i32 v8, v10, 0, 13
	v_or_b32_e32 v10, 0x1000, v2
	v_med3_i32 v6, v6, 0, 13
	v_or_b32_e32 v11, 0x1000, v4
	v_lshrrev_b32_e32 v12, v8, v10
	v_lshrrev_b32_e32 v13, v6, v11
	v_lshlrev_b32_e32 v8, v8, v12
	v_lshlrev_b32_e32 v6, v6, v13
	v_cmp_ne_u32_e32 vcc_lo, v8, v10
	v_lshl_or_b32 v10, v7, 12, v2
	v_cndmask_b32_e64 v8, 0, 1, vcc_lo
	v_cmp_ne_u32_e32 vcc_lo, v6, v11
	v_lshl_or_b32 v11, v9, 12, v4
	v_or_b32_e32 v8, v12, v8
	v_cndmask_b32_e64 v6, 0, 1, vcc_lo
	v_cmp_gt_i32_e32 vcc_lo, 1, v7
	v_or_b32_e32 v6, v13, v6
	v_cndmask_b32_e32 v8, v10, v8, vcc_lo
	v_cmp_gt_i32_e32 vcc_lo, 1, v9
	v_and_b32_e32 v10, 7, v8
	v_cndmask_b32_e32 v6, v11, v6, vcc_lo
	v_cmp_ne_u32_e32 vcc_lo, 0, v2
	v_lshrrev_b32_e32 v8, 2, v8
	v_cmp_eq_u32_e64 s0, 3, v10
	v_and_b32_e32 v11, 7, v6
	v_cndmask_b32_e64 v2, 0, 1, vcc_lo
	v_cmp_ne_u32_e32 vcc_lo, 0, v4
	v_lshrrev_b32_e32 v6, 2, v6
	v_cmp_lt_i32_e64 s1, 5, v11
	v_cmp_eq_u32_e64 s2, 3, v11
	v_cndmask_b32_e64 v4, 0, 1, vcc_lo
	v_cmp_lt_i32_e32 vcc_lo, 5, v10
	v_lshl_or_b32 v2, v2, 9, 0x7c00
	v_lshl_or_b32 v4, v4, 9, 0x7c00
	s_or_b32 vcc_lo, s0, vcc_lo
	v_add_co_ci_u32_e32 v8, vcc_lo, 0, v8, vcc_lo
	s_or_b32 vcc_lo, s2, s1
	v_add_co_ci_u32_e32 v6, vcc_lo, 0, v6, vcc_lo
	v_cmp_gt_i32_e32 vcc_lo, 31, v7
	v_cndmask_b32_e32 v8, 0x7c00, v8, vcc_lo
	v_cmp_gt_i32_e32 vcc_lo, 31, v9
	v_cndmask_b32_e32 v6, 0x7c00, v6, vcc_lo
	v_cmp_eq_u32_e32 vcc_lo, 0x40f, v7
	v_cndmask_b32_e32 v2, v8, v2, vcc_lo
	v_cmp_eq_u32_e32 vcc_lo, 0x40f, v9
	v_and_or_b32 v2, 0x8000, v3, v2
	v_cndmask_b32_e32 v4, v6, v4, vcc_lo
	v_add_co_u32 v0, vcc_lo, v0, s6
	v_add_co_ci_u32_e32 v1, vcc_lo, s7, v1, vcc_lo
	v_and_or_b32 v3, 0x8000, v5, v4
	v_and_b32_e32 v2, 0xffff, v2
	v_lshl_or_b32 v2, v3, 16, v2
	global_store_dword v[0:1], v2, off
.LBB0_23:
	s_endpgm
	.section	.rodata,"a",@progbits
	.p2align	6, 0x0
	.amdhsa_kernel bluestein_single_back_len714_dim1_half_op_CI_CI
		.amdhsa_group_segment_fixed_size 2856
		.amdhsa_private_segment_fixed_size 0
		.amdhsa_kernarg_size 104
		.amdhsa_user_sgpr_count 6
		.amdhsa_user_sgpr_private_segment_buffer 1
		.amdhsa_user_sgpr_dispatch_ptr 0
		.amdhsa_user_sgpr_queue_ptr 0
		.amdhsa_user_sgpr_kernarg_segment_ptr 1
		.amdhsa_user_sgpr_dispatch_id 0
		.amdhsa_user_sgpr_flat_scratch_init 0
		.amdhsa_user_sgpr_private_segment_size 0
		.amdhsa_wavefront_size32 1
		.amdhsa_uses_dynamic_stack 0
		.amdhsa_system_sgpr_private_segment_wavefront_offset 0
		.amdhsa_system_sgpr_workgroup_id_x 1
		.amdhsa_system_sgpr_workgroup_id_y 0
		.amdhsa_system_sgpr_workgroup_id_z 0
		.amdhsa_system_sgpr_workgroup_info 0
		.amdhsa_system_vgpr_workitem_id 0
		.amdhsa_next_free_vgpr 245
		.amdhsa_next_free_sgpr 16
		.amdhsa_reserve_vcc 1
		.amdhsa_reserve_flat_scratch 0
		.amdhsa_float_round_mode_32 0
		.amdhsa_float_round_mode_16_64 0
		.amdhsa_float_denorm_mode_32 3
		.amdhsa_float_denorm_mode_16_64 3
		.amdhsa_dx10_clamp 1
		.amdhsa_ieee_mode 1
		.amdhsa_fp16_overflow 0
		.amdhsa_workgroup_processor_mode 1
		.amdhsa_memory_ordered 1
		.amdhsa_forward_progress 0
		.amdhsa_shared_vgpr_count 0
		.amdhsa_exception_fp_ieee_invalid_op 0
		.amdhsa_exception_fp_denorm_src 0
		.amdhsa_exception_fp_ieee_div_zero 0
		.amdhsa_exception_fp_ieee_overflow 0
		.amdhsa_exception_fp_ieee_underflow 0
		.amdhsa_exception_fp_ieee_inexact 0
		.amdhsa_exception_int_div_zero 0
	.end_amdhsa_kernel
	.text
.Lfunc_end0:
	.size	bluestein_single_back_len714_dim1_half_op_CI_CI, .Lfunc_end0-bluestein_single_back_len714_dim1_half_op_CI_CI
                                        ; -- End function
	.section	.AMDGPU.csdata,"",@progbits
; Kernel info:
; codeLenInByte = 29976
; NumSgprs: 18
; NumVgprs: 245
; ScratchSize: 0
; MemoryBound: 0
; FloatMode: 240
; IeeeMode: 1
; LDSByteSize: 2856 bytes/workgroup (compile time only)
; SGPRBlocks: 2
; VGPRBlocks: 30
; NumSGPRsForWavesPerEU: 18
; NumVGPRsForWavesPerEU: 245
; Occupancy: 4
; WaveLimiterHint : 1
; COMPUTE_PGM_RSRC2:SCRATCH_EN: 0
; COMPUTE_PGM_RSRC2:USER_SGPR: 6
; COMPUTE_PGM_RSRC2:TRAP_HANDLER: 0
; COMPUTE_PGM_RSRC2:TGID_X_EN: 1
; COMPUTE_PGM_RSRC2:TGID_Y_EN: 0
; COMPUTE_PGM_RSRC2:TGID_Z_EN: 0
; COMPUTE_PGM_RSRC2:TIDIG_COMP_CNT: 0
	.text
	.p2alignl 6, 3214868480
	.fill 48, 4, 3214868480
	.type	__hip_cuid_24895bd692255126,@object ; @__hip_cuid_24895bd692255126
	.section	.bss,"aw",@nobits
	.globl	__hip_cuid_24895bd692255126
__hip_cuid_24895bd692255126:
	.byte	0                               ; 0x0
	.size	__hip_cuid_24895bd692255126, 1

	.ident	"AMD clang version 19.0.0git (https://github.com/RadeonOpenCompute/llvm-project roc-6.4.0 25133 c7fe45cf4b819c5991fe208aaa96edf142730f1d)"
	.section	".note.GNU-stack","",@progbits
	.addrsig
	.addrsig_sym __hip_cuid_24895bd692255126
	.amdgpu_metadata
---
amdhsa.kernels:
  - .args:
      - .actual_access:  read_only
        .address_space:  global
        .offset:         0
        .size:           8
        .value_kind:     global_buffer
      - .actual_access:  read_only
        .address_space:  global
        .offset:         8
        .size:           8
        .value_kind:     global_buffer
      - .actual_access:  read_only
        .address_space:  global
        .offset:         16
        .size:           8
        .value_kind:     global_buffer
      - .actual_access:  read_only
        .address_space:  global
        .offset:         24
        .size:           8
        .value_kind:     global_buffer
      - .actual_access:  read_only
        .address_space:  global
        .offset:         32
        .size:           8
        .value_kind:     global_buffer
      - .offset:         40
        .size:           8
        .value_kind:     by_value
      - .address_space:  global
        .offset:         48
        .size:           8
        .value_kind:     global_buffer
      - .address_space:  global
        .offset:         56
        .size:           8
        .value_kind:     global_buffer
      - .address_space:  global
        .offset:         64
        .size:           8
        .value_kind:     global_buffer
      - .address_space:  global
        .offset:         72
        .size:           8
        .value_kind:     global_buffer
      - .offset:         80
        .size:           4
        .value_kind:     by_value
      - .address_space:  global
        .offset:         88
        .size:           8
        .value_kind:     global_buffer
      - .address_space:  global
        .offset:         96
        .size:           8
        .value_kind:     global_buffer
    .group_segment_fixed_size: 2856
    .kernarg_segment_align: 8
    .kernarg_segment_size: 104
    .language:       OpenCL C
    .language_version:
      - 2
      - 0
    .max_flat_workgroup_size: 51
    .name:           bluestein_single_back_len714_dim1_half_op_CI_CI
    .private_segment_fixed_size: 0
    .sgpr_count:     18
    .sgpr_spill_count: 0
    .symbol:         bluestein_single_back_len714_dim1_half_op_CI_CI.kd
    .uniform_work_group_size: 1
    .uses_dynamic_stack: false
    .vgpr_count:     245
    .vgpr_spill_count: 0
    .wavefront_size: 32
    .workgroup_processor_mode: 1
amdhsa.target:   amdgcn-amd-amdhsa--gfx1030
amdhsa.version:
  - 1
  - 2
...

	.end_amdgpu_metadata
